;; amdgpu-corpus repo=ROCm/rocFFT kind=compiled arch=gfx1201 opt=O3
	.text
	.amdgcn_target "amdgcn-amd-amdhsa--gfx1201"
	.amdhsa_code_object_version 6
	.protected	fft_rtc_fwd_len150_factors_10_5_3_wgs_60_tpt_5_halfLds_half_op_CI_CI_unitstride_sbrr_dirReg ; -- Begin function fft_rtc_fwd_len150_factors_10_5_3_wgs_60_tpt_5_halfLds_half_op_CI_CI_unitstride_sbrr_dirReg
	.globl	fft_rtc_fwd_len150_factors_10_5_3_wgs_60_tpt_5_halfLds_half_op_CI_CI_unitstride_sbrr_dirReg
	.p2align	8
	.type	fft_rtc_fwd_len150_factors_10_5_3_wgs_60_tpt_5_halfLds_half_op_CI_CI_unitstride_sbrr_dirReg,@function
fft_rtc_fwd_len150_factors_10_5_3_wgs_60_tpt_5_halfLds_half_op_CI_CI_unitstride_sbrr_dirReg: ; @fft_rtc_fwd_len150_factors_10_5_3_wgs_60_tpt_5_halfLds_half_op_CI_CI_unitstride_sbrr_dirReg
; %bb.0:
	s_load_b128 s[8:11], s[0:1], 0x0
	v_mul_u32_u24_e32 v1, 0x3334, v0
	s_clause 0x1
	s_load_b128 s[4:7], s[0:1], 0x58
	s_load_b128 s[12:15], s[0:1], 0x18
	v_mov_b32_e32 v9, 0
	v_mov_b32_e32 v7, 0
	;; [unrolled: 1-line block ×3, first 2 shown]
	v_lshrrev_b32_e32 v1, 16, v1
	s_delay_alu instid0(VALU_DEP_1) | instskip(NEXT) | instid1(VALU_DEP_4)
	v_mad_co_u64_u32 v[5:6], null, ttmp9, 12, v[1:2]
	v_dual_mov_b32 v6, v9 :: v_dual_mov_b32 v1, v7
	s_delay_alu instid0(VALU_DEP_2) | instskip(NEXT) | instid1(VALU_DEP_2)
	v_dual_mov_b32 v2, v8 :: v_dual_mov_b32 v3, v5
	v_mov_b32_e32 v4, v6
	s_wait_kmcnt 0x0
	v_cmp_lt_u64_e64 s2, s[10:11], 2
	s_delay_alu instid0(VALU_DEP_1)
	s_and_b32 vcc_lo, exec_lo, s2
	s_cbranch_vccnz .LBB0_8
; %bb.1:
	s_load_b64 s[2:3], s[0:1], 0x10
	v_dual_mov_b32 v7, 0 :: v_dual_mov_b32 v12, v6
	v_dual_mov_b32 v8, 0 :: v_dual_mov_b32 v11, v5
	s_delay_alu instid0(VALU_DEP_2) | instskip(SKIP_2) | instid1(VALU_DEP_2)
	v_mov_b32_e32 v1, v7
	s_add_nc_u64 s[16:17], s[14:15], 8
	s_add_nc_u64 s[18:19], s[12:13], 8
	v_mov_b32_e32 v2, v8
	s_mov_b64 s[20:21], 1
	s_wait_kmcnt 0x0
	s_add_nc_u64 s[22:23], s[2:3], 8
	s_mov_b32 s3, 0
.LBB0_2:                                ; =>This Inner Loop Header: Depth=1
	s_load_b64 s[24:25], s[22:23], 0x0
                                        ; implicit-def: $vgpr3_vgpr4
	s_mov_b32 s2, exec_lo
	s_wait_kmcnt 0x0
	v_or_b32_e32 v10, s25, v12
	s_delay_alu instid0(VALU_DEP_1)
	v_cmpx_ne_u64_e32 0, v[9:10]
	s_wait_alu 0xfffe
	s_xor_b32 s26, exec_lo, s2
	s_cbranch_execz .LBB0_4
; %bb.3:                                ;   in Loop: Header=BB0_2 Depth=1
	s_cvt_f32_u32 s2, s24
	s_cvt_f32_u32 s27, s25
	s_sub_nc_u64 s[30:31], 0, s[24:25]
	s_wait_alu 0xfffe
	s_delay_alu instid0(SALU_CYCLE_1) | instskip(SKIP_1) | instid1(SALU_CYCLE_2)
	s_fmamk_f32 s2, s27, 0x4f800000, s2
	s_wait_alu 0xfffe
	v_s_rcp_f32 s2, s2
	s_delay_alu instid0(TRANS32_DEP_1) | instskip(SKIP_1) | instid1(SALU_CYCLE_2)
	s_mul_f32 s2, s2, 0x5f7ffffc
	s_wait_alu 0xfffe
	s_mul_f32 s27, s2, 0x2f800000
	s_wait_alu 0xfffe
	s_delay_alu instid0(SALU_CYCLE_2) | instskip(SKIP_1) | instid1(SALU_CYCLE_2)
	s_trunc_f32 s27, s27
	s_wait_alu 0xfffe
	s_fmamk_f32 s2, s27, 0xcf800000, s2
	s_cvt_u32_f32 s29, s27
	s_wait_alu 0xfffe
	s_delay_alu instid0(SALU_CYCLE_1) | instskip(SKIP_1) | instid1(SALU_CYCLE_2)
	s_cvt_u32_f32 s28, s2
	s_wait_alu 0xfffe
	s_mul_u64 s[34:35], s[30:31], s[28:29]
	s_wait_alu 0xfffe
	s_mul_hi_u32 s37, s28, s35
	s_mul_i32 s36, s28, s35
	s_mul_hi_u32 s2, s28, s34
	s_mul_i32 s33, s29, s34
	s_wait_alu 0xfffe
	s_add_nc_u64 s[36:37], s[2:3], s[36:37]
	s_mul_hi_u32 s27, s29, s34
	s_mul_hi_u32 s38, s29, s35
	s_add_co_u32 s2, s36, s33
	s_wait_alu 0xfffe
	s_add_co_ci_u32 s2, s37, s27
	s_mul_i32 s34, s29, s35
	s_add_co_ci_u32 s35, s38, 0
	s_wait_alu 0xfffe
	s_add_nc_u64 s[34:35], s[2:3], s[34:35]
	s_wait_alu 0xfffe
	v_add_co_u32 v3, s2, s28, s34
	s_delay_alu instid0(VALU_DEP_1) | instskip(SKIP_1) | instid1(VALU_DEP_1)
	s_cmp_lg_u32 s2, 0
	s_add_co_ci_u32 s29, s29, s35
	v_readfirstlane_b32 s28, v3
	s_wait_alu 0xfffe
	s_delay_alu instid0(VALU_DEP_1)
	s_mul_u64 s[30:31], s[30:31], s[28:29]
	s_wait_alu 0xfffe
	s_mul_hi_u32 s35, s28, s31
	s_mul_i32 s34, s28, s31
	s_mul_hi_u32 s2, s28, s30
	s_mul_i32 s33, s29, s30
	s_wait_alu 0xfffe
	s_add_nc_u64 s[34:35], s[2:3], s[34:35]
	s_mul_hi_u32 s27, s29, s30
	s_mul_hi_u32 s28, s29, s31
	s_wait_alu 0xfffe
	s_add_co_u32 s2, s34, s33
	s_add_co_ci_u32 s2, s35, s27
	s_mul_i32 s30, s29, s31
	s_add_co_ci_u32 s31, s28, 0
	s_wait_alu 0xfffe
	s_add_nc_u64 s[30:31], s[2:3], s[30:31]
	s_wait_alu 0xfffe
	v_add_co_u32 v6, s2, v3, s30
	s_delay_alu instid0(VALU_DEP_1) | instskip(SKIP_1) | instid1(VALU_DEP_1)
	s_cmp_lg_u32 s2, 0
	s_add_co_ci_u32 s2, s29, s31
	v_mul_hi_u32 v10, v11, v6
	s_wait_alu 0xfffe
	v_mad_co_u64_u32 v[3:4], null, v11, s2, 0
	v_mad_co_u64_u32 v[13:14], null, v12, v6, 0
	;; [unrolled: 1-line block ×3, first 2 shown]
	s_delay_alu instid0(VALU_DEP_3) | instskip(SKIP_1) | instid1(VALU_DEP_4)
	v_add_co_u32 v3, vcc_lo, v10, v3
	s_wait_alu 0xfffd
	v_add_co_ci_u32_e32 v4, vcc_lo, 0, v4, vcc_lo
	s_delay_alu instid0(VALU_DEP_2) | instskip(SKIP_1) | instid1(VALU_DEP_2)
	v_add_co_u32 v3, vcc_lo, v3, v13
	s_wait_alu 0xfffd
	v_add_co_ci_u32_e32 v3, vcc_lo, v4, v14, vcc_lo
	s_wait_alu 0xfffd
	v_add_co_ci_u32_e32 v4, vcc_lo, 0, v16, vcc_lo
	s_delay_alu instid0(VALU_DEP_2) | instskip(SKIP_1) | instid1(VALU_DEP_2)
	v_add_co_u32 v6, vcc_lo, v3, v15
	s_wait_alu 0xfffd
	v_add_co_ci_u32_e32 v10, vcc_lo, 0, v4, vcc_lo
	s_delay_alu instid0(VALU_DEP_2) | instskip(SKIP_1) | instid1(VALU_DEP_3)
	v_mul_lo_u32 v13, s25, v6
	v_mad_co_u64_u32 v[3:4], null, s24, v6, 0
	v_mul_lo_u32 v14, s24, v10
	s_delay_alu instid0(VALU_DEP_2) | instskip(NEXT) | instid1(VALU_DEP_2)
	v_sub_co_u32 v3, vcc_lo, v11, v3
	v_add3_u32 v4, v4, v14, v13
	s_delay_alu instid0(VALU_DEP_1) | instskip(SKIP_1) | instid1(VALU_DEP_1)
	v_sub_nc_u32_e32 v13, v12, v4
	s_wait_alu 0xfffd
	v_subrev_co_ci_u32_e64 v13, s2, s25, v13, vcc_lo
	v_add_co_u32 v14, s2, v6, 2
	s_wait_alu 0xf1ff
	v_add_co_ci_u32_e64 v15, s2, 0, v10, s2
	v_sub_co_u32 v16, s2, v3, s24
	v_sub_co_ci_u32_e32 v4, vcc_lo, v12, v4, vcc_lo
	s_wait_alu 0xf1ff
	v_subrev_co_ci_u32_e64 v13, s2, 0, v13, s2
	s_delay_alu instid0(VALU_DEP_3) | instskip(NEXT) | instid1(VALU_DEP_3)
	v_cmp_le_u32_e32 vcc_lo, s24, v16
	v_cmp_eq_u32_e64 s2, s25, v4
	s_wait_alu 0xfffd
	v_cndmask_b32_e64 v16, 0, -1, vcc_lo
	v_cmp_le_u32_e32 vcc_lo, s25, v13
	s_wait_alu 0xfffd
	v_cndmask_b32_e64 v17, 0, -1, vcc_lo
	v_cmp_le_u32_e32 vcc_lo, s24, v3
	;; [unrolled: 3-line block ×3, first 2 shown]
	s_wait_alu 0xfffd
	v_cndmask_b32_e64 v18, 0, -1, vcc_lo
	v_cmp_eq_u32_e32 vcc_lo, s25, v13
	s_wait_alu 0xf1ff
	s_delay_alu instid0(VALU_DEP_2)
	v_cndmask_b32_e64 v3, v18, v3, s2
	s_wait_alu 0xfffd
	v_cndmask_b32_e32 v13, v17, v16, vcc_lo
	v_add_co_u32 v16, vcc_lo, v6, 1
	s_wait_alu 0xfffd
	v_add_co_ci_u32_e32 v17, vcc_lo, 0, v10, vcc_lo
	s_delay_alu instid0(VALU_DEP_3) | instskip(SKIP_1) | instid1(VALU_DEP_2)
	v_cmp_ne_u32_e32 vcc_lo, 0, v13
	s_wait_alu 0xfffd
	v_dual_cndmask_b32 v4, v17, v15 :: v_dual_cndmask_b32 v13, v16, v14
	v_cmp_ne_u32_e32 vcc_lo, 0, v3
	s_wait_alu 0xfffd
	s_delay_alu instid0(VALU_DEP_2) | instskip(NEXT) | instid1(VALU_DEP_3)
	v_cndmask_b32_e32 v4, v10, v4, vcc_lo
	v_cndmask_b32_e32 v3, v6, v13, vcc_lo
.LBB0_4:                                ;   in Loop: Header=BB0_2 Depth=1
	s_wait_alu 0xfffe
	s_and_not1_saveexec_b32 s2, s26
	s_cbranch_execz .LBB0_6
; %bb.5:                                ;   in Loop: Header=BB0_2 Depth=1
	v_cvt_f32_u32_e32 v3, s24
	s_sub_co_i32 s26, 0, s24
	s_delay_alu instid0(VALU_DEP_1) | instskip(NEXT) | instid1(TRANS32_DEP_1)
	v_rcp_iflag_f32_e32 v3, v3
	v_mul_f32_e32 v3, 0x4f7ffffe, v3
	s_delay_alu instid0(VALU_DEP_1) | instskip(SKIP_1) | instid1(VALU_DEP_1)
	v_cvt_u32_f32_e32 v3, v3
	s_wait_alu 0xfffe
	v_mul_lo_u32 v4, s26, v3
	s_delay_alu instid0(VALU_DEP_1) | instskip(NEXT) | instid1(VALU_DEP_1)
	v_mul_hi_u32 v4, v3, v4
	v_add_nc_u32_e32 v3, v3, v4
	s_delay_alu instid0(VALU_DEP_1) | instskip(NEXT) | instid1(VALU_DEP_1)
	v_mul_hi_u32 v3, v11, v3
	v_mul_lo_u32 v4, v3, s24
	v_add_nc_u32_e32 v6, 1, v3
	s_delay_alu instid0(VALU_DEP_2) | instskip(NEXT) | instid1(VALU_DEP_1)
	v_sub_nc_u32_e32 v4, v11, v4
	v_subrev_nc_u32_e32 v10, s24, v4
	v_cmp_le_u32_e32 vcc_lo, s24, v4
	s_wait_alu 0xfffd
	s_delay_alu instid0(VALU_DEP_2) | instskip(SKIP_1) | instid1(VALU_DEP_2)
	v_cndmask_b32_e32 v4, v4, v10, vcc_lo
	v_cndmask_b32_e32 v3, v3, v6, vcc_lo
	v_cmp_le_u32_e32 vcc_lo, s24, v4
	v_mov_b32_e32 v4, v9
	s_delay_alu instid0(VALU_DEP_3) | instskip(SKIP_1) | instid1(VALU_DEP_1)
	v_add_nc_u32_e32 v6, 1, v3
	s_wait_alu 0xfffd
	v_cndmask_b32_e32 v3, v3, v6, vcc_lo
.LBB0_6:                                ;   in Loop: Header=BB0_2 Depth=1
	s_wait_alu 0xfffe
	s_or_b32 exec_lo, exec_lo, s2
	v_mul_lo_u32 v6, v4, s24
	s_delay_alu instid0(VALU_DEP_2)
	v_mul_lo_u32 v10, v3, s25
	s_load_b64 s[26:27], s[18:19], 0x0
	v_mad_co_u64_u32 v[13:14], null, v3, s24, 0
	s_load_b64 s[24:25], s[16:17], 0x0
	s_add_nc_u64 s[20:21], s[20:21], 1
	s_add_nc_u64 s[16:17], s[16:17], 8
	s_wait_alu 0xfffe
	v_cmp_ge_u64_e64 s2, s[20:21], s[10:11]
	s_add_nc_u64 s[18:19], s[18:19], 8
	s_add_nc_u64 s[22:23], s[22:23], 8
	v_add3_u32 v6, v14, v10, v6
	v_sub_co_u32 v10, vcc_lo, v11, v13
	s_wait_alu 0xfffd
	s_delay_alu instid0(VALU_DEP_2) | instskip(SKIP_2) | instid1(VALU_DEP_1)
	v_sub_co_ci_u32_e32 v6, vcc_lo, v12, v6, vcc_lo
	s_and_b32 vcc_lo, exec_lo, s2
	s_wait_kmcnt 0x0
	v_mul_lo_u32 v11, s26, v6
	v_mul_lo_u32 v12, s27, v10
	v_mad_co_u64_u32 v[7:8], null, s26, v10, v[7:8]
	v_mul_lo_u32 v6, s24, v6
	v_mul_lo_u32 v13, s25, v10
	v_mad_co_u64_u32 v[1:2], null, s24, v10, v[1:2]
	s_delay_alu instid0(VALU_DEP_4) | instskip(NEXT) | instid1(VALU_DEP_2)
	v_add3_u32 v8, v12, v8, v11
	v_add3_u32 v2, v13, v2, v6
	s_wait_alu 0xfffe
	s_cbranch_vccnz .LBB0_8
; %bb.7:                                ;   in Loop: Header=BB0_2 Depth=1
	v_dual_mov_b32 v12, v4 :: v_dual_mov_b32 v11, v3
	s_branch .LBB0_2
.LBB0_8:
	s_load_b64 s[0:1], s[0:1], 0x28
	v_mul_hi_u32 v31, 0x33333334, v0
	s_lshl_b64 s[10:11], s[10:11], 3
                                        ; implicit-def: $vgpr13
                                        ; implicit-def: $vgpr9
                                        ; implicit-def: $vgpr10
	s_wait_kmcnt 0x0
	v_cmp_gt_u64_e32 vcc_lo, s[0:1], v[3:4]
	v_cmp_le_u64_e64 s0, s[0:1], v[3:4]
	s_delay_alu instid0(VALU_DEP_1)
	s_and_saveexec_b32 s1, s0
	s_wait_alu 0xfffe
	s_xor_b32 s0, exec_lo, s1
; %bb.9:
	v_mul_u32_u24_e32 v6, 5, v31
                                        ; implicit-def: $vgpr31
                                        ; implicit-def: $vgpr7_vgpr8
	s_delay_alu instid0(VALU_DEP_1) | instskip(NEXT) | instid1(VALU_DEP_1)
	v_sub_nc_u32_e32 v13, v0, v6
                                        ; implicit-def: $vgpr0
	v_or_b32_e32 v9, 40, v13
	v_or_b32_e32 v10, 0x50, v13
; %bb.10:
	s_wait_alu 0xfffe
	s_or_saveexec_b32 s1, s0
	s_add_nc_u64 s[2:3], s[14:15], s[10:11]
                                        ; implicit-def: $vgpr24
                                        ; implicit-def: $vgpr34
                                        ; implicit-def: $vgpr25
                                        ; implicit-def: $vgpr29
                                        ; implicit-def: $vgpr26
                                        ; implicit-def: $vgpr27
                                        ; implicit-def: $vgpr28
                                        ; implicit-def: $vgpr33
                                        ; implicit-def: $vgpr16
                                        ; implicit-def: $vgpr6
                                        ; implicit-def: $vgpr56
                                        ; implicit-def: $vgpr55
                                        ; implicit-def: $vgpr57
                                        ; implicit-def: $vgpr54
                                        ; implicit-def: $vgpr58
                                        ; implicit-def: $vgpr53
                                        ; implicit-def: $vgpr59
                                        ; implicit-def: $vgpr48
                                        ; implicit-def: $vgpr20
                                        ; implicit-def: $vgpr12
                                        ; implicit-def: $vgpr45
                                        ; implicit-def: $vgpr42
                                        ; implicit-def: $vgpr46
                                        ; implicit-def: $vgpr39
                                        ; implicit-def: $vgpr47
                                        ; implicit-def: $vgpr37
                                        ; implicit-def: $vgpr49
                                        ; implicit-def: $vgpr43
                                        ; implicit-def: $vgpr14
                                        ; implicit-def: $vgpr17
                                        ; implicit-def: $vgpr30
                                        ; implicit-def: $vgpr32
                                        ; implicit-def: $vgpr36
                                        ; implicit-def: $vgpr35
                                        ; implicit-def: $vgpr11
                                        ; implicit-def: $vgpr40
                                        ; implicit-def: $vgpr41
                                        ; implicit-def: $vgpr44
                                        ; implicit-def: $vgpr38
                                        ; implicit-def: $vgpr19
                                        ; implicit-def: $vgpr21
                                        ; implicit-def: $vgpr22
                                        ; implicit-def: $vgpr23
                                        ; implicit-def: $vgpr15
                                        ; implicit-def: $vgpr18
	s_wait_alu 0xfffe
	s_xor_b32 exec_lo, exec_lo, s1
	s_cbranch_execz .LBB0_12
; %bb.11:
	s_add_nc_u64 s[10:11], s[12:13], s[10:11]
	s_load_b64 s[10:11], s[10:11], 0x0
	s_wait_kmcnt 0x0
	v_mul_lo_u32 v6, s11, v3
	v_mul_lo_u32 v11, s10, v4
	v_mad_co_u64_u32 v[9:10], null, s10, v3, 0
	s_delay_alu instid0(VALU_DEP_1) | instskip(SKIP_2) | instid1(VALU_DEP_3)
	v_add3_u32 v10, v10, v11, v6
	v_mul_u32_u24_e32 v11, 5, v31
	v_lshlrev_b64_e32 v[6:7], 2, v[7:8]
	v_lshlrev_b64_e32 v[9:10], 2, v[9:10]
	s_delay_alu instid0(VALU_DEP_3) | instskip(NEXT) | instid1(VALU_DEP_2)
	v_sub_nc_u32_e32 v13, v0, v11
	v_add_co_u32 v0, s0, s4, v9
	s_wait_alu 0xf1ff
	s_delay_alu instid0(VALU_DEP_3) | instskip(NEXT) | instid1(VALU_DEP_3)
	v_add_co_ci_u32_e64 v8, s0, s5, v10, s0
	v_lshlrev_b32_e32 v9, 2, v13
	s_delay_alu instid0(VALU_DEP_3) | instskip(SKIP_1) | instid1(VALU_DEP_3)
	v_add_co_u32 v0, s0, v0, v6
	s_wait_alu 0xf1ff
	v_add_co_ci_u32_e64 v6, s0, v8, v7, s0
	v_or_b32_e32 v10, 0x50, v13
	s_delay_alu instid0(VALU_DEP_3) | instskip(SKIP_1) | instid1(VALU_DEP_3)
	v_add_co_u32 v7, s0, v0, v9
	s_wait_alu 0xf1ff
	v_add_co_ci_u32_e64 v8, s0, 0, v6, s0
	v_or_b32_e32 v9, 40, v13
	s_clause 0x1d
	global_load_b32 v17, v[7:8], off
	global_load_b32 v12, v[7:8], off offset:20
	global_load_b32 v48, v[7:8], off offset:140
	;; [unrolled: 1-line block ×29, first 2 shown]
	s_wait_loadcnt 0x1d
	v_lshrrev_b32_e32 v14, 16, v17
	s_wait_loadcnt 0x1c
	v_lshrrev_b32_e32 v20, 16, v12
	;; [unrolled: 2-line block ×15, first 2 shown]
.LBB0_12:
	s_or_b32 exec_lo, exec_lo, s1
	v_add_f16_e32 v7, v43, v17
	v_mul_hi_u32 v0, 0xaaaaaaab, v5
	v_add_f16_e32 v8, v39, v37
	v_add_f16_e32 v60, v42, v43
	v_sub_f16_e32 v50, v49, v45
	v_add_f16_e32 v7, v37, v7
	v_sub_f16_e32 v51, v47, v46
	v_sub_f16_e32 v31, v43, v37
	;; [unrolled: 1-line block ×3, first 2 shown]
	v_lshrrev_b32_e32 v0, 3, v0
	v_add_f16_e32 v7, v39, v7
	v_fma_f16 v61, -0.5, v8, v17
	v_fmac_f16_e32 v17, -0.5, v60
	v_sub_f16_e32 v8, v37, v43
	v_mul_lo_u32 v0, v0, 12
	v_add_f16_e32 v60, v42, v7
	v_add_f16_e32 v7, v49, v14
	v_sub_f16_e32 v62, v39, v42
	v_fmamk_f16 v63, v50, 0x3b9c, v61
	v_add_f16_e32 v64, v46, v47
	v_add_f16_e32 v52, v52, v31
	v_fmac_f16_e32 v61, 0xbb9c, v50
	v_fmamk_f16 v31, v51, 0xbb9c, v17
	v_fmac_f16_e32 v17, 0x3b9c, v51
	v_add_f16_e32 v7, v47, v7
	v_fmac_f16_e32 v63, 0x38b4, v51
	v_sub_nc_u32_e32 v0, v5, v0
	v_fmac_f16_e32 v61, 0xb8b4, v51
	v_fmac_f16_e32 v31, 0x38b4, v50
	v_add_f16_e32 v5, v62, v8
	v_fma_f16 v62, -0.5, v64, v14
	v_sub_f16_e32 v43, v43, v42
	v_fmac_f16_e32 v17, 0xb8b4, v50
	v_add_f16_e32 v7, v46, v7
	v_fmac_f16_e32 v63, 0x34f2, v52
	v_fmac_f16_e32 v61, 0x34f2, v52
	;; [unrolled: 1-line block ×3, first 2 shown]
	v_fmamk_f16 v8, v43, 0xbb9c, v62
	v_sub_f16_e32 v51, v37, v39
	v_sub_f16_e32 v37, v49, v47
	;; [unrolled: 1-line block ×3, first 2 shown]
	v_add_f16_e32 v42, v45, v49
	v_fmac_f16_e32 v17, 0x34f2, v5
	v_add_f16_e32 v52, v45, v7
	v_fmac_f16_e32 v62, 0x3b9c, v43
	v_sub_f16_e32 v5, v47, v49
	v_sub_f16_e32 v7, v46, v45
	s_wait_loadcnt 0x2
	v_pk_add_f16 v45, v35, v36 neg_lo:[0,1] neg_hi:[0,1]
	v_pk_add_f16 v46, v32, v30 neg_lo:[0,1] neg_hi:[0,1]
	v_fmac_f16_e32 v8, 0xb8b4, v51
	v_add_f16_e32 v39, v39, v37
	v_fmac_f16_e32 v14, -0.5, v42
	v_fmac_f16_e32 v62, 0x38b4, v51
	v_add_f16_e32 v5, v7, v5
	v_pk_add_f16 v42, v36, v30 neg_lo:[0,1] neg_hi:[0,1]
	v_pk_add_f16 v45, v46, v45
	v_add_f16_e32 v46, v35, v11
	v_fmac_f16_e32 v8, 0x34f2, v39
	v_fmamk_f16 v37, v51, 0x3b9c, v14
	v_fmac_f16_e32 v62, 0x34f2, v39
	v_mul_f16_e32 v39, 0x34f2, v5
	v_fmac_f16_e32 v14, 0xbb9c, v51
	v_add_f16_e32 v5, v30, v36
	v_pk_add_f16 v7, v35, v32 neg_lo:[0,1] neg_hi:[0,1]
	v_bfi_b32 v45, 0xffff, v45, v42
	v_add_f16_e32 v46, v36, v46
	v_lshrrev_b32_e32 v47, 16, v36
	v_lshrrev_b32_e32 v49, 16, v30
	v_fmac_f16_e32 v37, 0xb8b4, v43
	v_fmac_f16_e32 v14, 0x38b4, v43
	v_fma_f16 v5, -0.5, v5, v11
	v_lshrrev_b32_e32 v43, 16, v7
	v_pk_mul_f16 v45, 0x38b434f2, v45
	v_lshrrev_b32_e32 v64, 16, v35
	v_lshrrev_b32_e32 v65, 16, v11
	v_add_f16_e32 v66, v49, v47
	v_add_f16_e32 v46, v30, v46
	v_fmamk_f16 v50, v43, 0x3b9c, v5
	v_lshrrev_b32_e32 v51, 16, v45
	v_fmac_f16_e32 v5, 0xbb9c, v43
	v_add_f16_e32 v43, v64, v65
	v_fmac_f16_e32 v65, -0.5, v66
	v_add_f16_e32 v66, v32, v46
	v_lshrrev_b32_e32 v46, 16, v32
	v_add_f16_e32 v50, v51, v50
	v_sub_f16_e32 v5, v5, v51
	v_fmamk_f16 v51, v7, 0xbb9c, v65
	v_sub_f16_e32 v64, v64, v47
	v_sub_f16_e32 v67, v46, v49
	v_add_f16_e32 v50, v45, v50
	v_add_f16_e32 v5, v45, v5
	;; [unrolled: 1-line block ×3, first 2 shown]
	v_fmac_f16_e32 v65, 0x3b9c, v7
	v_fmac_f16_e32 v51, 0xb8b4, v42
	v_add_f16_e32 v45, v67, v64
	v_pk_add_f16 v64, v32, v35
	v_pk_add_f16 v67, v36, v35 neg_lo:[0,1] neg_hi:[0,1]
	v_fmac_f16_e32 v65, 0x38b4, v42
	v_add_f16_e32 v35, v49, v43
	v_fmac_f16_e32 v51, 0x34f2, v45
	v_mul_f16_e32 v36, 0x3a79, v50
	v_mul_f16_e32 v43, 0xb8b4, v50
	v_pk_add_f16 v68, v30, v32 neg_lo:[0,1] neg_hi:[0,1]
	v_fmac_f16_e32 v65, 0x34f2, v45
	v_mul_f16_e32 v30, 0x3a79, v5
	v_fmac_f16_e32 v36, 0x38b4, v51
	v_fmac_f16_e32 v43, 0x3a79, v51
	v_add_f16_e32 v51, v54, v53
	v_add_f16_e32 v35, v46, v35
	v_mul_f16_e32 v32, 0x3a79, v65
	v_fma_f16 v50, v65, 0x38b4, -v30
	v_add_f16_e32 v46, v66, v60
	v_sub_f16_e32 v49, v60, v66
	v_add_f16_e32 v60, v48, v12
	v_fma_f16 v66, -0.5, v51, v12
	v_sub_f16_e32 v69, v59, v56
	v_add_f16_e32 v47, v63, v36
	v_fma_f16 v65, v5, 0xb8b4, -v32
	v_add_f16_e32 v45, v61, v50
	v_add_f16_e32 v5, v35, v52
	v_sub_f16_e32 v51, v63, v36
	v_sub_f16_e32 v50, v61, v50
	;; [unrolled: 1-line block ×3, first 2 shown]
	v_add_f16_e32 v36, v53, v60
	v_fmamk_f16 v60, v69, 0x3b9c, v66
	v_sub_f16_e32 v61, v58, v57
	v_sub_f16_e32 v52, v48, v53
	;; [unrolled: 1-line block ×3, first 2 shown]
	v_fmac_f16_e32 v66, 0xbb9c, v69
	v_add_f16_e32 v71, v55, v48
	v_add_f16_e32 v70, v54, v36
	v_fmac_f16_e32 v60, 0x38b4, v61
	v_add_f16_e32 v52, v63, v52
	v_fmac_f16_e32 v66, 0xb8b4, v61
	v_fmac_f16_e32 v12, -0.5, v71
	v_add_f16_e32 v63, v57, v58
	v_add_f16_e32 v71, v59, v20
	;; [unrolled: 1-line block ×3, first 2 shown]
	v_sub_f16_e32 v36, v62, v65
	v_add_f16_e32 v62, v55, v70
	v_fmac_f16_e32 v60, 0x34f2, v52
	v_fmac_f16_e32 v66, 0x34f2, v52
	v_fmamk_f16 v52, v61, 0xbb9c, v12
	v_sub_f16_e32 v65, v53, v48
	v_sub_f16_e32 v70, v54, v55
	v_fma_f16 v63, -0.5, v63, v20
	v_sub_f16_e32 v55, v48, v55
	v_fmac_f16_e32 v12, 0x3b9c, v61
	v_add_f16_e32 v61, v58, v71
	v_add_f16_e32 v65, v70, v65
	v_sub_f16_e32 v53, v53, v54
	v_fmamk_f16 v48, v55, 0xbb9c, v63
	v_sub_f16_e32 v54, v59, v58
	v_sub_f16_e32 v70, v56, v57
	v_add_f16_e32 v61, v57, v61
	v_fmac_f16_e32 v63, 0x3b9c, v55
	v_fmac_f16_e32 v52, 0x38b4, v69
	;; [unrolled: 1-line block ×4, first 2 shown]
	v_add_f16_e32 v54, v70, v54
	v_add_f16_e32 v69, v56, v59
	;; [unrolled: 1-line block ×3, first 2 shown]
	v_sub_f16_e32 v58, v58, v59
	v_sub_f16_e32 v56, v57, v56
	v_fmac_f16_e32 v63, 0x38b4, v53
	s_wait_loadcnt 0x1
	v_pk_add_f16 v57, v38, v44 neg_lo:[0,1] neg_hi:[0,1]
	v_pk_add_f16 v59, v41, v40 neg_lo:[0,1] neg_hi:[0,1]
	v_fmac_f16_e32 v48, 0x34f2, v54
	v_fmac_f16_e32 v20, -0.5, v69
	v_fmac_f16_e32 v63, 0x34f2, v54
	v_pk_add_f16 v54, v44, v40 neg_lo:[0,1] neg_hi:[0,1]
	v_pk_add_f16 v57, v59, v57
	v_add_f16_e32 v56, v56, v58
	v_add_f16_e32 v58, v40, v44
	v_pk_add_f16 v59, v38, v41 neg_lo:[0,1] neg_hi:[0,1]
	v_fmac_f16_e32 v52, 0x34f2, v65
	v_bfi_b32 v57, 0xffff, v57, v54
	v_fmac_f16_e32 v12, 0x34f2, v65
	v_fmamk_f16 v65, v53, 0x3b9c, v20
	v_fmac_f16_e32 v20, 0xbb9c, v53
	v_fma_f16 v53, -0.5, v58, v19
	v_lshrrev_b32_e32 v58, 16, v59
	v_pk_mul_f16 v57, 0x38b434f2, v57
	v_lshrrev_b32_e32 v70, 16, v44
	v_lshrrev_b32_e32 v71, 16, v40
	;; [unrolled: 1-line block ×3, first 2 shown]
	v_fmamk_f16 v72, v58, 0x3b9c, v53
	v_lshrrev_b32_e32 v73, 16, v57
	v_lshrrev_b32_e32 v75, 16, v19
	v_add_f16_e32 v76, v71, v70
	v_fmac_f16_e32 v65, 0xb8b4, v55
	v_fmac_f16_e32 v20, 0x38b4, v55
	v_add_f16_e32 v55, v73, v72
	v_add_f16_e32 v72, v74, v75
	v_fmac_f16_e32 v75, -0.5, v76
	v_lshrrev_b32_e32 v76, 16, v41
	v_add_f16_e32 v69, v38, v19
	v_fmac_f16_e32 v53, 0xbb9c, v58
	v_sub_f16_e32 v74, v74, v70
	v_fmamk_f16 v58, v59, 0xbb9c, v75
	v_sub_f16_e32 v77, v76, v71
	v_fmac_f16_e32 v75, 0x3b9c, v59
	v_add_f16_e32 v69, v44, v69
	v_add_f16_e32 v70, v70, v72
	v_sub_f16_e32 v53, v53, v73
	v_add_f16_e32 v72, v77, v74
	v_fmac_f16_e32 v75, 0x38b4, v54
	v_add_f16_e32 v69, v40, v69
	v_add_f16_e32 v70, v71, v70
	;; [unrolled: 1-line block ×3, first 2 shown]
	v_fmac_f16_e32 v58, 0xb8b4, v54
	v_fmac_f16_e32 v75, 0x34f2, v72
	v_add_f16_e32 v69, v41, v69
	v_add_f16_e32 v53, v57, v53
	v_pk_add_f16 v57, v41, v38
	v_pk_add_f16 v40, v40, v41 neg_lo:[0,1] neg_hi:[0,1]
	v_add_f16_e32 v41, v76, v70
	v_mul_f16_e32 v70, 0x3a79, v75
	v_fmac_f16_e32 v58, 0x34f2, v72
	v_mul_f16_e32 v72, 0x3a79, v53
	v_sub_f16_e32 v78, v33, v27
	v_sub_f16_e32 v79, v34, v29
	v_fma_f16 v53, v53, 0xb8b4, -v70
	v_add_f16_e32 v70, v33, v6
	v_mul_f16_e32 v71, 0x3a79, v55
	v_pk_add_f16 v38, v44, v38 neg_lo:[0,1] neg_hi:[0,1]
	v_fma_f16 v44, v75, 0x38b4, -v72
	v_mul_f16_e32 v55, 0xb8b4, v55
	v_add_f16_e32 v72, v69, v62
	v_add_f16_e32 v75, v29, v27
	;; [unrolled: 1-line block ×3, first 2 shown]
	v_sub_f16_e32 v62, v62, v69
	v_add_f16_e32 v69, v27, v70
	v_sub_f16_e32 v53, v63, v53
	v_add_f16_e32 v63, v79, v78
	v_sub_f16_e32 v78, v27, v33
	v_sub_f16_e32 v79, v29, v34
	v_fmac_f16_e32 v71, 0x38b4, v58
	v_fmac_f16_e32 v55, 0x3a79, v58
	v_add_f16_e32 v58, v41, v61
	v_fma_f16 v70, -0.5, v75, v6
	v_sub_f16_e32 v75, v28, v24
	v_sub_f16_e32 v41, v61, v41
	v_add_f16_e32 v61, v29, v69
	v_add_f16_e32 v69, v34, v33
	;; [unrolled: 1-line block ×6, first 2 shown]
	v_sub_f16_e32 v60, v60, v71
	v_sub_f16_e32 v44, v66, v44
	v_fmamk_f16 v66, v75, 0x3b9c, v70
	v_sub_f16_e32 v71, v26, v25
	v_fmac_f16_e32 v6, -0.5, v69
	v_add_f16_e32 v61, v34, v61
	v_fmac_f16_e32 v70, 0xbb9c, v75
	v_add_f16_e32 v80, v25, v26
	v_sub_f16_e32 v33, v33, v34
	v_add_f16_e32 v34, v26, v79
	v_fmac_f16_e32 v66, 0x38b4, v71
	v_fmamk_f16 v69, v71, 0xbb9c, v6
	v_fmac_f16_e32 v70, 0xb8b4, v71
	v_fma_f16 v80, -0.5, v80, v16
	v_fmac_f16_e32 v6, 0x3b9c, v71
	v_add_f16_e32 v34, v25, v34
	v_fmac_f16_e32 v66, 0x34f2, v63
	v_fmac_f16_e32 v69, 0x38b4, v75
	;; [unrolled: 1-line block ×3, first 2 shown]
	v_fmamk_f16 v63, v33, 0xbb9c, v80
	v_sub_f16_e32 v27, v27, v29
	v_sub_f16_e32 v29, v28, v26
	;; [unrolled: 1-line block ×3, first 2 shown]
	v_fmac_f16_e32 v6, 0xb8b4, v75
	v_add_f16_e32 v75, v24, v28
	v_fmac_f16_e32 v80, 0x3b9c, v33
	v_add_f16_e32 v34, v24, v34
	v_sub_f16_e32 v26, v26, v28
	v_sub_f16_e32 v24, v25, v24
	s_wait_loadcnt 0x0
	v_pk_add_f16 v25, v15, v23 neg_lo:[0,1] neg_hi:[0,1]
	v_pk_add_f16 v28, v22, v21 neg_lo:[0,1] neg_hi:[0,1]
	v_fmac_f16_e32 v63, 0xb8b4, v27
	v_add_f16_e32 v29, v71, v29
	v_fmac_f16_e32 v80, 0x38b4, v27
	v_add_f16_e32 v24, v24, v26
	v_pk_add_f16 v26, v23, v21 neg_lo:[0,1] neg_hi:[0,1]
	v_pk_add_f16 v25, v28, v25
	v_fmac_f16_e32 v16, -0.5, v75
	v_fmac_f16_e32 v63, 0x34f2, v29
	v_fmac_f16_e32 v80, 0x34f2, v29
	v_add_f16_e32 v28, v21, v23
	v_pk_add_f16 v29, v15, v22 neg_lo:[0,1] neg_hi:[0,1]
	v_bfi_b32 v25, 0xffff, v25, v26
	v_fmac_f16_e32 v69, 0x34f2, v78
	v_fmac_f16_e32 v6, 0x34f2, v78
	v_fmamk_f16 v71, v27, 0x3b9c, v16
	v_fmac_f16_e32 v16, 0xbb9c, v27
	v_fma_f16 v28, -0.5, v28, v18
	v_lshrrev_b32_e32 v75, 16, v29
	v_pk_mul_f16 v25, 0x38b434f2, v25
	v_lshrrev_b32_e32 v78, 16, v23
	v_lshrrev_b32_e32 v79, 16, v21
	v_fmac_f16_e32 v71, 0xb8b4, v33
	v_fmac_f16_e32 v16, 0x38b4, v33
	v_fmamk_f16 v33, v75, 0x3b9c, v28
	v_lshrrev_b32_e32 v81, 16, v25
	v_fmac_f16_e32 v28, 0xbb9c, v75
	v_lshrrev_b32_e32 v75, 16, v15
	v_lshrrev_b32_e32 v82, 16, v18
	v_add_f16_e32 v83, v79, v78
	v_add_f16_e32 v27, v15, v18
	;; [unrolled: 1-line block ×3, first 2 shown]
	v_sub_f16_e32 v28, v28, v81
	v_add_f16_e32 v81, v75, v82
	v_fmac_f16_e32 v82, -0.5, v83
	v_lshrrev_b32_e32 v83, 16, v22
	v_add_f16_e32 v27, v23, v27
	v_add_f16_e32 v33, v25, v33
	v_add_f16_e32 v25, v25, v28
	v_fmamk_f16 v28, v29, 0xbb9c, v82
	v_sub_f16_e32 v75, v75, v78
	v_sub_f16_e32 v84, v83, v79
	v_add_f16_e32 v27, v21, v27
	v_fmac_f16_e32 v82, 0x3b9c, v29
	v_fmac_f16_e32 v28, 0xb8b4, v26
	v_pk_add_f16 v85, v22, v15
	v_add_f16_e32 v75, v84, v75
	v_add_f16_e32 v27, v22, v27
	;; [unrolled: 1-line block ×3, first 2 shown]
	v_pk_add_f16 v21, v21, v22 neg_lo:[0,1] neg_hi:[0,1]
	v_mul_f16_e32 v22, 0x3a79, v33
	v_fmac_f16_e32 v28, 0x34f2, v75
	v_pk_fma_f16 v11, v64, 0.5, v11 op_sel_hi:[1,0,1] neg_lo:[1,0,0] neg_hi:[1,0,0]
	v_pk_mul_f16 v42, 0x3b9c, v42 op_sel_hi:[0,1]
	v_fmac_f16_e32 v82, 0x38b4, v26
	v_pk_add_f16 v23, v23, v15 neg_lo:[0,1] neg_hi:[0,1]
	v_add_f16_e32 v15, v79, v78
	v_mul_f16_e32 v33, 0xb8b4, v33
	v_fmac_f16_e32 v22, 0x38b4, v28
	v_pk_mul_f16 v7, 0x38b4, v7 op_sel_hi:[0,1]
	v_pk_add_f16 v64, v11, v42 op_sel:[0,1] op_sel_hi:[1,0] neg_lo:[0,1] neg_hi:[0,1]
	v_pk_add_f16 v11, v42, v11 op_sel:[1,0] op_sel_hi:[0,1]
	v_fmac_f16_e32 v82, 0x34f2, v75
	v_mul_f16_e32 v75, 0x3a79, v25
	v_add_f16_e32 v15, v83, v15
	v_fmac_f16_e32 v33, 0x3a79, v28
	v_add_f16_e32 v28, v66, v22
	v_sub_f16_e32 v22, v66, v22
	v_pk_add_f16 v66, v68, v67
	v_pk_add_f16 v64, v7, v64 op_sel:[1,0] op_sel_hi:[0,1]
	v_pk_add_f16 v7, v11, v7 op_sel:[0,1] op_sel_hi:[1,0] neg_lo:[0,1] neg_hi:[0,1]
	v_pk_fma_f16 v19, v57, 0.5, v19 op_sel_hi:[1,0,1] neg_lo:[1,0,0] neg_hi:[1,0,0]
	v_pk_mul_f16 v54, 0x3b9c, v54 op_sel_hi:[0,1]
	v_mul_f16_e32 v78, 0x3a79, v82
	v_fma_f16 v75, v82, 0x38b4, -v75
	v_add_f16_e32 v81, v15, v34
	v_sub_f16_e32 v34, v34, v15
	v_pk_fma_f16 v15, 0x34f2, v66, v64 op_sel_hi:[0,1,1]
	v_pk_fma_f16 v64, 0x34f2, v66, v7 op_sel_hi:[0,1,1]
	v_pk_mul_f16 v57, 0x38b4, v59 op_sel_hi:[0,1]
	v_pk_add_f16 v59, v19, v54 op_sel:[0,1] op_sel_hi:[1,0] neg_lo:[0,1] neg_hi:[0,1]
	v_pk_add_f16 v19, v54, v19 op_sel:[1,0] op_sel_hi:[0,1]
	v_mul_u32_u24_e32 v0, 0x96, v0
	v_add_f16_e32 v79, v27, v61
	v_fma_f16 v25, v25, 0xb8b4, -v78
	v_add_f16_e32 v78, v70, v75
	v_sub_f16_e32 v27, v61, v27
	v_sub_f16_e32 v61, v70, v75
	v_pack_b32_f16 v14, v14, v37
	v_mul_f16_e32 v37, 0x34f2, v15
	v_lshrrev_b32_e32 v67, 16, v64
	v_lshrrev_b32_e32 v70, 16, v15
	v_pk_mul_f16 v15, 0x34f23b9c, v15
	v_pk_add_f16 v38, v40, v38
	v_pk_add_f16 v40, v57, v59 op_sel:[1,0] op_sel_hi:[0,1]
	v_pk_add_f16 v19, v19, v57 op_sel:[0,1] op_sel_hi:[1,0] neg_lo:[0,1] neg_hi:[0,1]
	v_lshlrev_b32_e32 v42, 1, v0
	v_lshlrev_b32_e32 v7, 1, v13
	v_mul_f16_e32 v68, 0x34f2, v64
	v_pk_add_f16 v39, v39, v14 op_sel_hi:[0,1]
	v_fmac_f16_e32 v37, 0x3b9c, v67
	v_pk_fma_f16 v64, 0x34f2bb9c, v64, v15 op_sel:[0,0,1] op_sel_hi:[1,1,0] neg_lo:[0,0,1] neg_hi:[0,0,1]
	v_pk_fma_f16 v40, 0x34f2, v38, v40 op_sel_hi:[0,1,1]
	v_pk_fma_f16 v19, 0x34f2, v38, v19 op_sel_hi:[0,1,1]
	v_add_f16_e32 v32, v8, v43
	v_add_nc_u32_e32 v11, 0, v42
	v_fma_f16 v67, v70, 0x3b9c, -v68
	v_add3_u32 v14, 0, v7, v42
	v_add_f16_e32 v42, v31, v37
	v_pk_add_f16 v70, v39, v64
	v_sub_f16_e32 v31, v31, v37
	v_sub_f16_e32 v37, v39, v64
	v_pack_b32_f16 v46, v46, v47
	v_pack_b32_f16 v45, v45, v49
	v_bfi_b32 v8, 0xffff, v8, v39
	v_bfi_b32 v38, 0xffff, v43, v64
	v_mul_f16_e32 v39, 0x34f2, v40
	v_lshrrev_b32_e32 v43, 16, v19
	v_mul_f16_e32 v47, 0x34f2, v19
	v_lshrrev_b32_e32 v49, 16, v40
	v_pk_mul_f16 v40, 0x34f23b9c, v40
	v_pk_add_f16 v8, v8, v38 neg_lo:[0,1] neg_hi:[0,1]
	v_fmac_f16_e32 v39, 0x3b9c, v43
	v_pk_fma_f16 v18, v85, 0.5, v18 op_sel_hi:[1,0,1] neg_lo:[1,0,0] neg_hi:[1,0,0]
	v_fma_f16 v38, v49, 0x3b9c, -v47
	v_pk_mul_f16 v26, 0x3b9c, v26 op_sel_hi:[0,1]
	v_pk_fma_f16 v19, 0x34f2bb9c, v19, v40 op_sel:[0,0,1] op_sel_hi:[1,1,0] neg_lo:[0,0,1] neg_hi:[0,0,1]
	v_add_f16_e32 v40, v52, v39
	v_pk_mul_f16 v29, 0x38b4, v29 op_sel_hi:[0,1]
	v_add_f16_e32 v43, v12, v38
	v_pk_add_f16 v49, v26, v18 op_sel:[1,0] op_sel_hi:[0,1]
	v_pk_add_f16 v18, v18, v26 op_sel:[0,1] op_sel_hi:[1,0] neg_lo:[0,1] neg_hi:[0,1]
	v_mul_u32_u24_e32 v0, 10, v13
	v_add_f16_e32 v68, v17, v67
	v_sub_f16_e32 v12, v12, v38
	v_pack_b32_f16 v38, v40, v43
	v_pk_add_f16 v40, v49, v29 op_sel:[0,1] op_sel_hi:[1,0] neg_lo:[0,1] neg_hi:[0,1]
	v_pk_add_f16 v21, v21, v23
	v_pk_add_f16 v18, v29, v18 op_sel:[1,0] op_sel_hi:[0,1]
	v_sub_f16_e32 v39, v52, v39
	v_mul_f16_e32 v56, 0x34f2, v56
	v_lshl_add_u32 v66, v0, 1, v11
	v_sub_f16_e32 v17, v17, v67
	v_pack_b32_f16 v42, v42, v68
	v_pack_b32_f16 v20, v20, v65
	v_pk_fma_f16 v40, 0x34f2, v21, v40 op_sel_hi:[0,1,1]
	v_pk_fma_f16 v18, 0x34f2, v21, v18 op_sel_hi:[0,1,1]
	v_pack_b32_f16 v31, v51, v31
	v_pack_b32_f16 v23, v72, v73
	;; [unrolled: 1-line block ×4, first 2 shown]
	s_load_b64 s[2:3], s[2:3], 0x0
	v_pack_b32_f16 v17, v17, v50
	v_pk_add_f16 v20, v56, v20 op_sel_hi:[0,1]
	ds_store_2addr_b32 v66, v46, v42 offset1:1
	ds_store_2addr_b32 v66, v45, v31 offset0:2 offset1:3
	ds_store_2addr_b32 v66, v23, v38 offset0:25 offset1:26
	;; [unrolled: 1-line block ×3, first 2 shown]
	v_pack_b32_f16 v12, v12, v44
	v_mul_f16_e32 v21, 0x34f2, v18
	v_lshrrev_b32_e32 v23, 16, v40
	v_mul_f16_e32 v29, 0x34f2, v40
	v_lshrrev_b32_e32 v31, 16, v18
	v_pk_add_f16 v47, v20, v19
	v_sub_f16_e32 v26, v20, v19
	v_bfi_b32 v20, 0xffff, v48, v20
	v_bfi_b32 v19, 0xffff, v55, v19
	ds_store_2addr_b32 v66, v17, v12 offset0:4 offset1:29
	v_fmac_f16_e32 v21, 0x3b9c, v23
	v_fma_f16 v12, v31, 0x3b9c, -v29
	v_pk_mul_f16 v18, 0x34f23b9c, v18
	v_pk_add_f16 v17, v20, v19 neg_lo:[0,1] neg_hi:[0,1]
	v_mul_f16_e32 v24, 0x34f2, v24
	v_add_f16_e32 v19, v69, v21
	v_add_f16_e32 v20, v6, v12
	v_sub_f16_e32 v21, v69, v21
	v_sub_f16_e32 v6, v6, v12
	v_pack_b32_f16 v16, v16, v71
	v_pk_fma_f16 v23, 0x34f2bb9c, v40, v18 op_sel:[0,0,1] op_sel_hi:[1,1,0] neg_lo:[0,0,1] neg_hi:[0,0,1]
	v_pack_b32_f16 v12, v19, v20
	v_pack_b32_f16 v18, v79, v28
	;; [unrolled: 1-line block ×4, first 2 shown]
	v_add_f16_e32 v76, v48, v55
	v_pack_b32_f16 v6, v6, v61
	v_add_nc_u32_e32 v0, v11, v7
	v_pk_add_f16 v16, v24, v16 op_sel_hi:[0,1]
	ds_store_2addr_b32 v66, v18, v12 offset0:50 offset1:51
	ds_store_2addr_b32 v66, v20, v19 offset0:52 offset1:53
	ds_store_b32 v66, v6 offset:216
	v_alignbit_b32 v6, v70, v70, 16
	v_pack_b32_f16 v5, v5, v32
	v_pack_b32_f16 v30, v30, v35
	v_alignbit_b32 v31, v47, v47, 16
	v_pack_b32_f16 v32, v58, v76
	v_pack_b32_f16 v35, v77, v41
	v_lshl_add_u32 v15, v9, 1, v11
	v_pk_add_f16 v24, v16, v23
	v_sub_f16_e32 v27, v16, v23
	global_wb scope:SCOPE_SE
	s_wait_dscnt 0x0
	s_wait_kmcnt 0x0
	s_barrier_signal -1
	s_barrier_wait -1
	global_inv scope:SCOPE_SE
	ds_load_u16 v21, v0
	ds_load_u16 v22, v14 offset:10
	ds_load_u16 v20, v14 offset:20
	;; [unrolled: 1-line block ×27, first 2 shown]
	ds_load_u16 v59, v15
	ds_load_u16 v64, v14 offset:290
	global_wb scope:SCOPE_SE
	s_wait_dscnt 0x0
	s_barrier_signal -1
	s_barrier_wait -1
	global_inv scope:SCOPE_SE
	ds_store_2addr_b32 v66, v5, v6 offset1:1
	ds_store_2addr_b32 v66, v30, v8 offset0:2 offset1:3
	ds_store_2addr_b32 v66, v32, v31 offset0:25 offset1:26
	;; [unrolled: 1-line block ×3, first 2 shown]
	v_mov_b32_e32 v6, 0
	v_bfi_b32 v16, 0xffff, v63, v16
	v_bfi_b32 v17, 0xffff, v33, v23
	v_lshlrev_b32_e32 v5, 2, v13
	v_pack_b32_f16 v8, v26, v53
	v_add_f16_e32 v82, v63, v33
	v_add_f16_e32 v83, v80, v25
	v_pk_add_f16 v26, v16, v17 neg_lo:[0,1] neg_hi:[0,1]
	v_lshlrev_b64_e32 v[16:17], 2, v[5:6]
	v_sub_f16_e32 v25, v80, v25
	v_pack_b32_f16 v36, v37, v36
	v_alignbit_b32 v23, v24, v24, 16
	v_pack_b32_f16 v24, v81, v82
	v_pack_b32_f16 v30, v83, v34
	v_add_co_u32 v16, s0, s8, v16
	s_wait_alu 0xf1ff
	v_add_co_ci_u32_e64 v17, s0, s9, v17, s0
	v_pack_b32_f16 v25, v27, v25
	ds_store_2addr_b32 v66, v36, v8 offset0:4 offset1:29
	ds_store_2addr_b32 v66, v24, v23 offset0:50 offset1:51
	;; [unrolled: 1-line block ×3, first 2 shown]
	ds_store_b32 v66, v25 offset:216
	global_wb scope:SCOPE_SE
	s_wait_dscnt 0x0
	s_barrier_signal -1
	s_barrier_wait -1
	global_inv scope:SCOPE_SE
	global_load_b128 v[23:26], v[16:17], off
	v_add_nc_u32_e32 v8, 5, v13
	v_lshl_add_u32 v10, v10, 1, v11
	s_delay_alu instid0(VALU_DEP_2) | instskip(NEXT) | instid1(VALU_DEP_1)
	v_lshlrev_b32_e32 v5, 2, v8
	v_lshlrev_b64_e32 v[16:17], 2, v[5:6]
	s_delay_alu instid0(VALU_DEP_1) | instskip(SKIP_1) | instid1(VALU_DEP_2)
	v_add_co_u32 v16, s0, s8, v16
	s_wait_alu 0xf1ff
	v_add_co_ci_u32_e64 v17, s0, s9, v17, s0
	global_load_b128 v[30:33], v[16:17], off
	v_add_nc_u32_e32 v16, 20, v13
	ds_load_u16 v5, v14 offset:60
	ds_load_u16 v27, v14 offset:70
	;; [unrolled: 1-line block ×20, first 2 shown]
	v_add_nc_u32_e32 v17, 25, v13
	ds_load_u16 v76, v15
	ds_load_u16 v77, v14 offset:290
	v_and_b32_e32 v37, 0xff, v16
	s_delay_alu instid0(VALU_DEP_1)
	v_mul_lo_u16 v37, 0xcd, v37
	s_wait_loadcnt 0x1
	v_lshrrev_b32_e32 v75, 16, v23
	v_lshrrev_b32_e32 v78, 16, v24
	;; [unrolled: 1-line block ×4, first 2 shown]
	s_delay_alu instid0(VALU_DEP_4)
	v_mul_f16_e32 v81, v28, v75
	s_wait_dscnt 0x15
	v_mul_f16_e32 v79, v5, v75
	v_mul_f16_e32 v83, v54, v78
	;; [unrolled: 1-line block ×4, first 2 shown]
	v_fmac_f16_e32 v81, v5, v23
	v_lshrrev_b16 v5, 11, v37
	v_fma_f16 v79, v28, v23, -v79
	s_wait_dscnt 0x13
	v_mul_f16_e32 v28, v34, v78
	v_fmac_f16_e32 v83, v34, v24
	v_and_b32_e32 v34, 0xff, v17
	v_mul_lo_u16 v5, v5, 10
	s_wait_dscnt 0xe
	v_mul_f16_e32 v37, v35, v80
	v_fma_f16 v84, v54, v24, -v28
	s_wait_dscnt 0x4
	v_mul_f16_e32 v28, v36, v82
	v_fmac_f16_e32 v85, v35, v25
	v_sub_nc_u16 v5, v16, v5
	v_fma_f16 v86, v57, v25, -v37
	v_fmac_f16_e32 v87, v36, v26
	v_fma_f16 v88, v56, v26, -v28
	s_wait_loadcnt 0x0
	v_lshrrev_b32_e32 v54, 16, v30
	v_and_b32_e32 v28, 0xff, v5
	v_mul_lo_u16 v5, 0xcd, v34
	v_lshrrev_b32_e32 v89, 16, v31
	v_lshrrev_b32_e32 v90, 16, v32
	v_mul_f16_e32 v34, v27, v54
	v_lshlrev_b32_e32 v35, 4, v28
	v_lshrrev_b16 v5, 11, v5
	v_mul_f16_e32 v93, v29, v54
	v_lshrrev_b32_e32 v91, 16, v33
	v_fma_f16 v92, v29, v30, -v34
	global_load_b128 v[34:37], v35, s[8:9]
	v_mul_lo_u16 v5, v5, 10
	v_mul_f16_e32 v29, v41, v89
	v_mul_f16_e32 v94, v40, v89
	;; [unrolled: 1-line block ×3, first 2 shown]
	v_fmac_f16_e32 v93, v27, v30
	v_sub_nc_u16 v5, v17, v5
	v_fma_f16 v95, v40, v31, -v29
	v_mul_f16_e32 v97, v45, v90
	v_mul_f16_e32 v98, v50, v91
	s_wait_dscnt 0x1
	v_mul_f16_e32 v27, v76, v75
	v_and_b32_e32 v29, 0xff, v5
	v_fma_f16 v96, v45, v32, -v56
	v_mul_f16_e32 v5, v68, v91
	v_fmac_f16_e32 v97, v58, v32
	v_fmac_f16_e32 v98, v68, v33
	v_lshlrev_b32_e32 v40, 4, v29
	v_fma_f16 v68, v59, v23, -v27
	v_mul_f16_e32 v75, v59, v75
	v_fma_f16 v99, v50, v33, -v5
	v_mul_f16_e32 v5, v47, v78
	global_load_b128 v[56:59], v40, s[8:9]
	ds_load_u16 v40, v14 offset:100
	v_fmac_f16_e32 v75, v76, v23
	v_mul_f16_e32 v23, v65, v80
	v_fma_f16 v76, v42, v24, -v5
	ds_load_u16 v5, v14 offset:90
	v_mul_f16_e32 v80, v46, v80
	v_mul_f16_e32 v101, v38, v54
	v_fma_f16 v100, v46, v25, -v23
	v_mul_f16_e32 v23, v69, v82
	v_mul_f16_e32 v82, v51, v82
	v_fmac_f16_e32 v80, v65, v25
	v_fmac_f16_e32 v94, v41, v31
	v_mul_f16_e32 v78, v42, v78
	v_fma_f16 v65, v51, v26, -v23
	v_fmac_f16_e32 v82, v69, v26
	v_sub_f16_e32 v46, v79, v84
	v_add_f16_e32 v50, v79, v88
	v_fmac_f16_e32 v78, v47, v24
	v_sub_f16_e32 v47, v88, v86
	v_sub_f16_e32 v41, v83, v85
	s_delay_alu instid0(VALU_DEP_2) | instskip(SKIP_4) | instid1(VALU_DEP_3)
	v_add_f16_e32 v46, v46, v47
	s_wait_dscnt 0x0
	v_mul_f16_e32 v23, v5, v54
	v_fmac_f16_e32 v101, v5, v30
	v_sub_f16_e32 v47, v84, v79
	v_fma_f16 v69, v38, v30, -v23
	v_mul_f16_e32 v30, v53, v89
	v_mul_f16_e32 v89, v43, v89
	ds_load_u16 v26, v0
	ds_load_u16 v27, v14 offset:10
	ds_load_u16 v25, v14 offset:20
	;; [unrolled: 1-line block ×5, first 2 shown]
	global_wb scope:SCOPE_SE
	s_wait_loadcnt_dscnt 0x0
	s_barrier_signal -1
	v_fma_f16 v102, v43, v31, -v30
	v_mul_f16_e32 v30, v66, v90
	v_fmac_f16_e32 v89, v53, v31
	v_mul_f16_e32 v90, v48, v90
	v_mul_f16_e32 v31, v70, v91
	v_mul_f16_e32 v91, v52, v91
	v_fma_f16 v103, v48, v32, -v30
	s_barrier_wait -1
	v_fmac_f16_e32 v90, v66, v32
	v_fma_f16 v66, v52, v33, -v31
	v_fmac_f16_e32 v91, v70, v33
	v_sub_f16_e32 v70, v98, v97
	v_add_f16_e32 v53, v26, v81
	global_inv scope:SCOPE_SE
	v_lshrrev_b32_e32 v30, 16, v34
	v_lshrrev_b32_e32 v31, 16, v35
	;; [unrolled: 1-line block ×3, first 2 shown]
	s_delay_alu instid0(VALU_DEP_3)
	v_mul_f16_e32 v32, v40, v30
	v_mul_f16_e32 v43, v39, v30
	v_lshrrev_b32_e32 v30, 16, v37
	v_mul_f16_e32 v38, v63, v31
	v_mul_f16_e32 v45, v44, v31
	v_fma_f16 v54, v39, v34, -v32
	v_mul_f16_e32 v31, v67, v33
	v_mul_f16_e32 v32, v71, v30
	;; [unrolled: 1-line block ×3, first 2 shown]
	v_fmac_f16_e32 v43, v40, v34
	v_fma_f16 v51, v44, v35, -v38
	v_fma_f16 v52, v49, v36, -v31
	v_mul_f16_e32 v49, v55, v30
	v_fma_f16 v55, v55, v37, -v32
	v_fmac_f16_e32 v48, v67, v36
	v_fmac_f16_e32 v45, v63, v35
	v_lshrrev_b32_e32 v30, 16, v56
	v_lshrrev_b32_e32 v32, 16, v57
	;; [unrolled: 1-line block ×4, first 2 shown]
	v_fmac_f16_e32 v49, v71, v37
	v_mul_f16_e32 v34, v72, v30
	v_mul_f16_e32 v31, v60, v30
	;; [unrolled: 1-line block ×5, first 2 shown]
	v_fma_f16 v39, v60, v56, -v34
	v_mul_f16_e32 v33, v77, v36
	v_fma_f16 v34, v62, v57, -v30
	v_add_f16_e32 v30, v84, v86
	v_add_f16_e32 v38, v21, v79
	v_sub_f16_e32 v44, v81, v87
	v_fma_f16 v40, v61, v58, -v37
	v_fma_f16 v42, v64, v59, -v33
	v_fma_f16 v30, -0.5, v30, v21
	v_add_f16_e32 v37, v38, v84
	v_fmac_f16_e32 v21, -0.5, v50
	v_sub_f16_e32 v50, v86, v88
	v_fmac_f16_e32 v31, v72, v56
	v_fmamk_f16 v33, v44, 0x3b9c, v30
	v_fmac_f16_e32 v30, 0xbb9c, v44
	v_mul_f16_e32 v38, v64, v36
	v_add_f16_e32 v36, v37, v86
	v_add_f16_e32 v56, v83, v85
	v_fmac_f16_e32 v33, 0x38b4, v41
	v_fmac_f16_e32 v30, 0xb8b4, v41
	v_add_f16_e32 v47, v47, v50
	v_add_f16_e32 v50, v53, v83
	v_mul_f16_e32 v32, v62, v32
	v_add_f16_e32 v37, v36, v88
	v_fmac_f16_e32 v33, 0x34f2, v46
	v_fmamk_f16 v36, v41, 0xbb9c, v21
	v_fmac_f16_e32 v21, 0x3b9c, v41
	v_fma_f16 v41, -0.5, v56, v26
	v_sub_f16_e32 v56, v79, v88
	v_fmac_f16_e32 v30, 0x34f2, v46
	v_add_f16_e32 v46, v50, v85
	v_add_f16_e32 v50, v81, v87
	v_fmac_f16_e32 v32, v74, v57
	v_fmac_f16_e32 v35, v73, v58
	v_fmac_f16_e32 v36, 0x38b4, v44
	v_fmac_f16_e32 v21, 0xb8b4, v44
	v_fmamk_f16 v44, v56, 0xbb9c, v41
	v_sub_f16_e32 v53, v84, v86
	v_sub_f16_e32 v57, v81, v83
	;; [unrolled: 1-line block ×3, first 2 shown]
	v_fmac_f16_e32 v26, -0.5, v50
	v_fmac_f16_e32 v41, 0x3b9c, v56
	v_fmac_f16_e32 v38, v77, v59
	;; [unrolled: 1-line block ×4, first 2 shown]
	v_add_f16_e32 v47, v46, v87
	v_fmac_f16_e32 v44, 0xb8b4, v53
	v_add_f16_e32 v57, v57, v58
	v_fmamk_f16 v46, v53, 0x3b9c, v26
	v_sub_f16_e32 v50, v83, v81
	v_sub_f16_e32 v58, v85, v87
	v_add_f16_e32 v59, v95, v96
	v_fmac_f16_e32 v41, 0x38b4, v53
	v_add_f16_e32 v60, v22, v92
	v_fmac_f16_e32 v26, 0xbb9c, v53
	;; [unrolled: 2-line block ×3, first 2 shown]
	v_fmac_f16_e32 v46, 0xb8b4, v56
	v_add_f16_e32 v58, v50, v58
	v_fma_f16 v50, -0.5, v59, v22
	v_sub_f16_e32 v59, v93, v98
	v_fmac_f16_e32 v41, 0x34f2, v57
	v_add_f16_e32 v57, v60, v95
	v_sub_f16_e32 v60, v94, v97
	v_sub_f16_e32 v61, v92, v95
	;; [unrolled: 1-line block ×3, first 2 shown]
	v_fmac_f16_e32 v26, 0x38b4, v56
	v_fmac_f16_e32 v22, -0.5, v63
	v_fmac_f16_e32 v46, 0x34f2, v58
	v_fmamk_f16 v53, v59, 0x3b9c, v50
	v_add_f16_e32 v56, v57, v96
	v_add_f16_e32 v62, v61, v62
	v_fmac_f16_e32 v26, 0x34f2, v58
	v_fmac_f16_e32 v50, 0xbb9c, v59
	v_fmamk_f16 v61, v60, 0xbb9c, v22
	v_sub_f16_e32 v57, v95, v92
	v_sub_f16_e32 v58, v96, v99
	v_add_f16_e32 v63, v27, v93
	v_add_f16_e32 v64, v94, v97
	v_fmac_f16_e32 v22, 0x3b9c, v60
	v_fmac_f16_e32 v53, 0x38b4, v60
	;; [unrolled: 1-line block ×4, first 2 shown]
	v_add_f16_e32 v67, v57, v58
	v_add_f16_e32 v58, v63, v94
	v_fma_f16 v57, -0.5, v64, v27
	v_sub_f16_e32 v63, v92, v99
	v_fmac_f16_e32 v22, 0xb8b4, v59
	v_add_f16_e32 v60, v93, v98
	v_sub_f16_e32 v64, v93, v94
	v_fmac_f16_e32 v53, 0x34f2, v62
	v_fmac_f16_e32 v50, 0x34f2, v62
	;; [unrolled: 1-line block ×3, first 2 shown]
	v_add_f16_e32 v59, v58, v97
	v_fmamk_f16 v58, v63, 0xbb9c, v57
	v_sub_f16_e32 v62, v95, v96
	v_fmac_f16_e32 v22, 0x34f2, v67
	v_fmac_f16_e32 v27, -0.5, v60
	v_add_f16_e32 v64, v64, v70
	v_fmac_f16_e32 v57, 0x3b9c, v63
	v_sub_f16_e32 v67, v94, v93
	v_sub_f16_e32 v70, v97, v98
	v_add_f16_e32 v71, v76, v100
	v_fmac_f16_e32 v58, 0xb8b4, v62
	v_fmamk_f16 v60, v62, 0x3b9c, v27
	v_fmac_f16_e32 v57, 0x38b4, v62
	v_add_f16_e32 v67, v67, v70
	v_add_f16_e32 v70, v20, v68
	v_fma_f16 v71, -0.5, v71, v20
	v_sub_f16_e32 v72, v75, v82
	v_fmac_f16_e32 v27, 0xbb9c, v62
	v_add_f16_e32 v77, v68, v65
	v_fmac_f16_e32 v58, 0x34f2, v64
	v_fmac_f16_e32 v60, 0xb8b4, v63
	;; [unrolled: 1-line block ×3, first 2 shown]
	v_add_f16_e32 v62, v70, v76
	v_fmamk_f16 v64, v72, 0x3b9c, v71
	v_sub_f16_e32 v70, v78, v80
	v_sub_f16_e32 v73, v68, v76
	v_sub_f16_e32 v74, v65, v100
	v_fmac_f16_e32 v27, 0x38b4, v63
	v_fmac_f16_e32 v20, -0.5, v77
	v_fmac_f16_e32 v71, 0xbb9c, v72
	v_add_f16_e32 v77, v25, v75
	v_fmac_f16_e32 v60, 0x34f2, v67
	v_add_f16_e32 v62, v62, v100
	;; [unrolled: 2-line block ×3, first 2 shown]
	v_fmac_f16_e32 v27, 0x34f2, v67
	v_fmamk_f16 v67, v70, 0xbb9c, v20
	v_sub_f16_e32 v73, v76, v68
	v_sub_f16_e32 v74, v100, v65
	v_fmac_f16_e32 v71, 0xb8b4, v70
	v_add_f16_e32 v79, v78, v80
	v_fmac_f16_e32 v20, 0x3b9c, v70
	v_add_f16_e32 v70, v77, v78
	v_add_f16_e32 v62, v62, v65
	v_fmac_f16_e32 v64, 0x34f2, v63
	v_fmac_f16_e32 v67, 0x38b4, v72
	v_add_f16_e32 v73, v73, v74
	v_fma_f16 v74, -0.5, v79, v25
	v_sub_f16_e32 v65, v68, v65
	v_fmac_f16_e32 v71, 0x34f2, v63
	v_fmac_f16_e32 v20, 0xb8b4, v72
	v_add_f16_e32 v63, v70, v80
	v_add_f16_e32 v70, v75, v82
	v_sub_f16_e32 v72, v76, v100
	v_sub_f16_e32 v76, v75, v78
	;; [unrolled: 1-line block ×3, first 2 shown]
	v_fmamk_f16 v68, v65, 0xbb9c, v74
	v_fmac_f16_e32 v25, -0.5, v70
	v_fmac_f16_e32 v74, 0x3b9c, v65
	v_sub_f16_e32 v75, v78, v75
	v_add_f16_e32 v70, v76, v77
	v_sub_f16_e32 v76, v80, v82
	v_add_f16_e32 v77, v102, v103
	v_fmac_f16_e32 v67, 0x34f2, v73
	v_fmac_f16_e32 v20, 0x34f2, v73
	;; [unrolled: 1-line block ×3, first 2 shown]
	v_fmamk_f16 v73, v72, 0x3b9c, v25
	v_fmac_f16_e32 v74, 0x38b4, v72
	v_add_f16_e32 v75, v75, v76
	v_add_f16_e32 v76, v19, v69
	v_fma_f16 v77, -0.5, v77, v19
	v_sub_f16_e32 v78, v101, v91
	v_fmac_f16_e32 v25, 0xbb9c, v72
	v_add_f16_e32 v81, v69, v66
	v_fmac_f16_e32 v68, 0x34f2, v70
	v_fmac_f16_e32 v73, 0xb8b4, v65
	;; [unrolled: 1-line block ×3, first 2 shown]
	v_add_f16_e32 v70, v76, v102
	v_fmamk_f16 v72, v78, 0x3b9c, v77
	v_sub_f16_e32 v76, v89, v90
	v_sub_f16_e32 v79, v69, v102
	v_sub_f16_e32 v80, v66, v103
	v_fmac_f16_e32 v25, 0x38b4, v65
	v_fmac_f16_e32 v19, -0.5, v81
	v_fmac_f16_e32 v77, 0xbb9c, v78
	v_add_f16_e32 v81, v24, v101
	v_add_f16_e32 v63, v63, v82
	v_fmac_f16_e32 v73, 0x34f2, v75
	v_add_f16_e32 v65, v70, v103
	v_fmac_f16_e32 v72, 0x38b4, v76
	;; [unrolled: 2-line block ×3, first 2 shown]
	v_fmamk_f16 v75, v76, 0xbb9c, v19
	v_sub_f16_e32 v79, v102, v69
	v_sub_f16_e32 v80, v103, v66
	v_fmac_f16_e32 v77, 0xb8b4, v76
	v_add_f16_e32 v82, v89, v90
	v_fmac_f16_e32 v19, 0x3b9c, v76
	v_add_f16_e32 v76, v81, v89
	v_add_f16_e32 v65, v65, v66
	;; [unrolled: 1-line block ×3, first 2 shown]
	v_fma_f16 v80, -0.5, v82, v24
	v_sub_f16_e32 v66, v69, v66
	v_add_f16_e32 v69, v76, v90
	v_add_f16_e32 v76, v101, v91
	v_sub_f16_e32 v81, v101, v89
	v_sub_f16_e32 v82, v91, v90
	v_fmac_f16_e32 v72, 0x34f2, v70
	v_fmac_f16_e32 v75, 0x38b4, v78
	;; [unrolled: 1-line block ×4, first 2 shown]
	v_fmamk_f16 v70, v66, 0xbb9c, v80
	v_sub_f16_e32 v78, v102, v103
	v_fmac_f16_e32 v24, -0.5, v76
	v_add_f16_e32 v76, v81, v82
	v_fmac_f16_e32 v80, 0x3b9c, v66
	v_sub_f16_e32 v81, v89, v101
	v_sub_f16_e32 v82, v90, v91
	v_add_f16_e32 v83, v51, v52
	v_fmac_f16_e32 v75, 0x34f2, v79
	v_fmac_f16_e32 v19, 0x34f2, v79
	v_fmac_f16_e32 v70, 0xb8b4, v78
	v_fmamk_f16 v79, v78, 0x3b9c, v24
	v_fmac_f16_e32 v80, 0x38b4, v78
	v_add_f16_e32 v81, v81, v82
	v_add_f16_e32 v82, v18, v54
	v_fma_f16 v83, -0.5, v83, v18
	v_sub_f16_e32 v84, v43, v49
	v_fmac_f16_e32 v24, 0xbb9c, v78
	v_add_f16_e32 v87, v54, v55
	v_fmac_f16_e32 v70, 0x34f2, v76
	v_fmac_f16_e32 v79, 0xb8b4, v66
	;; [unrolled: 1-line block ×3, first 2 shown]
	v_add_f16_e32 v76, v82, v51
	v_fmamk_f16 v78, v84, 0x3b9c, v83
	v_sub_f16_e32 v82, v45, v48
	v_sub_f16_e32 v85, v54, v51
	;; [unrolled: 1-line block ×3, first 2 shown]
	v_fmac_f16_e32 v24, 0x38b4, v66
	v_fmac_f16_e32 v18, -0.5, v87
	v_fmac_f16_e32 v83, 0xbb9c, v84
	v_add_f16_e32 v87, v23, v43
	v_fmac_f16_e32 v79, 0x34f2, v81
	v_add_f16_e32 v66, v76, v52
	;; [unrolled: 2-line block ×3, first 2 shown]
	v_fmac_f16_e32 v24, 0x34f2, v81
	v_fmamk_f16 v81, v82, 0xbb9c, v18
	v_sub_f16_e32 v85, v51, v54
	v_sub_f16_e32 v86, v52, v55
	v_fmac_f16_e32 v83, 0xb8b4, v82
	v_add_f16_e32 v88, v45, v48
	v_fmac_f16_e32 v18, 0x3b9c, v82
	v_add_f16_e32 v82, v87, v45
	v_add_f16_e32 v66, v66, v55
	;; [unrolled: 1-line block ×3, first 2 shown]
	v_fma_f16 v86, -0.5, v88, v23
	v_sub_f16_e32 v54, v54, v55
	v_add_f16_e32 v55, v82, v48
	v_add_f16_e32 v82, v43, v49
	v_sub_f16_e32 v51, v51, v52
	v_sub_f16_e32 v52, v43, v45
	;; [unrolled: 1-line block ×4, first 2 shown]
	v_fmac_f16_e32 v78, 0x34f2, v76
	v_fmac_f16_e32 v81, 0x38b4, v84
	;; [unrolled: 1-line block ×4, first 2 shown]
	v_fmamk_f16 v76, v54, 0xbb9c, v86
	v_sub_f16_e32 v84, v49, v48
	v_fmac_f16_e32 v23, -0.5, v82
	v_fmac_f16_e32 v86, 0x3b9c, v54
	v_add_f16_e32 v48, v34, v40
	v_add_f16_e32 v43, v43, v45
	;; [unrolled: 1-line block ×3, first 2 shown]
	v_fmac_f16_e32 v81, 0x34f2, v85
	v_fmac_f16_e32 v18, 0x34f2, v85
	v_add_f16_e32 v82, v55, v49
	v_fmac_f16_e32 v76, 0xb8b4, v51
	v_add_f16_e32 v52, v52, v84
	v_fmamk_f16 v84, v51, 0x3b9c, v23
	v_fmac_f16_e32 v86, 0x38b4, v51
	v_fmac_f16_e32 v23, 0xbb9c, v51
	v_fma_f16 v48, -0.5, v48, v12
	v_sub_f16_e32 v49, v31, v38
	v_add_f16_e32 v45, v45, v34
	v_add_f16_e32 v85, v39, v42
	v_fmac_f16_e32 v76, 0x34f2, v52
	v_fmac_f16_e32 v84, 0xb8b4, v54
	;; [unrolled: 1-line block ×4, first 2 shown]
	v_fmamk_f16 v51, v49, 0x3b9c, v48
	v_sub_f16_e32 v52, v32, v35
	v_sub_f16_e32 v54, v39, v34
	;; [unrolled: 1-line block ×3, first 2 shown]
	v_fmac_f16_e32 v48, 0xbb9c, v49
	v_add_f16_e32 v45, v45, v40
	v_fmac_f16_e32 v12, -0.5, v85
	v_fmac_f16_e32 v84, 0x34f2, v43
	v_fmac_f16_e32 v51, 0x38b4, v52
	v_add_f16_e32 v54, v54, v55
	v_fmac_f16_e32 v48, 0xb8b4, v52
	v_fmac_f16_e32 v23, 0x34f2, v43
	v_add_f16_e32 v43, v45, v42
	v_fmamk_f16 v45, v52, 0xbb9c, v12
	v_fmac_f16_e32 v12, 0x3b9c, v52
	v_add_f16_e32 v52, v5, v31
	v_fmac_f16_e32 v51, 0x34f2, v54
	v_fmac_f16_e32 v48, 0x34f2, v54
	v_add_f16_e32 v54, v32, v35
	v_sub_f16_e32 v55, v34, v39
	v_sub_f16_e32 v85, v40, v42
	v_fmac_f16_e32 v45, 0x38b4, v49
	v_fmac_f16_e32 v12, 0xb8b4, v49
	v_add_f16_e32 v49, v52, v32
	v_add_f16_e32 v52, v31, v38
	v_fma_f16 v87, -0.5, v54, v5
	v_sub_f16_e32 v39, v39, v42
	v_add_f16_e32 v42, v55, v85
	v_sub_f16_e32 v34, v34, v40
	v_fmac_f16_e32 v5, -0.5, v52
	v_add_f16_e32 v40, v49, v35
	v_fmamk_f16 v85, v39, 0xbb9c, v87
	v_fmac_f16_e32 v45, 0x34f2, v42
	v_fmac_f16_e32 v12, 0x34f2, v42
	v_sub_f16_e32 v42, v31, v32
	v_sub_f16_e32 v49, v38, v35
	v_fmac_f16_e32 v87, 0x3b9c, v39
	v_fmamk_f16 v88, v34, 0x3b9c, v5
	v_sub_f16_e32 v31, v32, v31
	v_sub_f16_e32 v32, v35, v38
	v_fmac_f16_e32 v5, 0xbb9c, v34
	v_add_f16_e32 v56, v56, v99
	v_fmac_f16_e32 v85, 0xb8b4, v34
	v_add_f16_e32 v35, v42, v49
	v_fmac_f16_e32 v87, 0x38b4, v34
	v_fmac_f16_e32 v88, 0xb8b4, v39
	v_add_f16_e32 v31, v31, v32
	v_fmac_f16_e32 v5, 0x38b4, v39
	ds_store_b16 v14, v37
	ds_store_b16 v14, v33 offset:20
	ds_store_b16 v14, v56 offset:10
	;; [unrolled: 1-line block ×7, first 2 shown]
	v_lshl_add_u32 v61, v28, 1, v11
	v_add_f16_e32 v89, v40, v38
	v_fmac_f16_e32 v85, 0x34f2, v35
	v_fmac_f16_e32 v87, 0x34f2, v35
	;; [unrolled: 1-line block ×4, first 2 shown]
	ds_store_b16 v14, v30 offset:80
	ds_store_b16 v14, v50 offset:90
	;; [unrolled: 1-line block ×5, first 2 shown]
	ds_store_b16 v10, v20
	ds_store_b16 v14, v65 offset:110
	ds_store_b16 v14, v72 offset:130
	;; [unrolled: 1-line block ×6, first 2 shown]
	v_lshl_add_u32 v11, v29, 1, v11
	ds_store_b16 v61, v66 offset:200
	ds_store_b16 v61, v78 offset:220
	ds_store_b16 v61, v81 offset:240
	ds_store_b16 v61, v18 offset:260
	ds_store_b16 v61, v83 offset:280
	ds_store_b16 v11, v43 offset:200
	ds_store_b16 v11, v51 offset:220
	ds_store_b16 v11, v45 offset:240
	ds_store_b16 v11, v12 offset:260
	ds_store_b16 v11, v48 offset:280
	global_wb scope:SCOPE_SE
	s_wait_dscnt 0x0
	s_barrier_signal -1
	s_barrier_wait -1
	global_inv scope:SCOPE_SE
	ds_load_u16 v18, v0
	ds_load_u16 v19, v14 offset:10
	ds_load_u16 v20, v14 offset:20
	;; [unrolled: 1-line block ×27, first 2 shown]
	ds_load_u16 v49, v15
	ds_load_u16 v56, v14 offset:290
	v_add_f16_e32 v59, v59, v98
	v_add_f16_e32 v69, v69, v91
	global_wb scope:SCOPE_SE
	s_wait_dscnt 0x0
	s_barrier_signal -1
	s_barrier_wait -1
	global_inv scope:SCOPE_SE
	ds_store_b16 v14, v47
	ds_store_b16 v14, v44 offset:20
	ds_store_b16 v14, v59 offset:10
	;; [unrolled: 1-line block ×12, first 2 shown]
	ds_store_b16 v10, v25
	ds_store_b16 v14, v69 offset:110
	ds_store_b16 v14, v70 offset:130
	ds_store_b16 v14, v79 offset:150
	ds_store_b16 v14, v24 offset:170
	ds_store_b16 v14, v74 offset:180
	ds_store_b16 v14, v80 offset:190
	ds_store_b16 v61, v82 offset:200
	ds_store_b16 v61, v76 offset:220
	ds_store_b16 v61, v84 offset:240
	ds_store_b16 v61, v23 offset:260
	ds_store_b16 v61, v86 offset:280
	ds_store_b16 v11, v89 offset:200
	ds_store_b16 v11, v85 offset:220
	ds_store_b16 v11, v88 offset:240
	ds_store_b16 v11, v5 offset:260
	ds_store_b16 v11, v87 offset:280
	global_wb scope:SCOPE_SE
	s_wait_dscnt 0x0
	s_barrier_signal -1
	s_barrier_wait -1
	global_inv scope:SCOPE_SE
	s_and_saveexec_b32 s0, vcc_lo
	s_cbranch_execz .LBB0_14
; %bb.13:
	v_add_nc_u32_e32 v5, 0x5a, v7
	v_mul_hi_u32 v67, 0x51eb851f, v13
	v_lshlrev_b64_e32 v[1:2], 2, v[1:2]
	v_add_nc_u32_e32 v88, 15, v13
	s_delay_alu instid0(VALU_DEP_4) | instskip(SKIP_2) | instid1(VALU_DEP_2)
	v_lshlrev_b64_e32 v[10:11], 2, v[5:6]
	v_lshlrev_b32_e32 v5, 1, v9
	v_lshrrev_b32_e32 v67, 4, v67
	v_lshlrev_b64_e32 v[23:24], 2, v[5:6]
	s_delay_alu instid0(VALU_DEP_4)
	v_add_co_u32 v9, vcc_lo, s8, v10
	s_wait_alu 0xfffd
	v_add_co_ci_u32_e32 v10, vcc_lo, s9, v11, vcc_lo
	v_add_nc_u32_e32 v5, 0x46, v7
	v_mul_lo_u32 v89, v67, 50
	global_load_b64 v[11:12], v[9:10], off offset:160
	v_add_co_u32 v9, vcc_lo, s8, v23
	s_wait_alu 0xfffd
	v_add_co_ci_u32_e32 v10, vcc_lo, s9, v24, vcc_lo
	v_lshlrev_b64_e32 v[23:24], 2, v[5:6]
	v_add_nc_u32_e32 v5, 60, v7
	v_sub_nc_u32_e32 v89, v13, v89
	global_load_b64 v[9:10], v[9:10], off offset:160
	v_add_co_u32 v23, vcc_lo, s8, v23
	s_wait_alu 0xfffd
	v_add_co_ci_u32_e32 v24, vcc_lo, s9, v24, vcc_lo
	v_lshlrev_b64_e32 v[25:26], 2, v[5:6]
	v_lshlrev_b32_e32 v5, 1, v17
	global_load_b64 v[23:24], v[23:24], off offset:160
	v_add_co_u32 v25, vcc_lo, s8, v25
	s_wait_alu 0xfffd
	v_add_co_ci_u32_e32 v26, vcc_lo, s9, v26, vcc_lo
	v_lshlrev_b64_e32 v[46:47], 2, v[5:6]
	v_lshlrev_b32_e32 v5, 1, v16
	global_load_b64 v[25:26], v[25:26], off offset:160
	v_lshlrev_b64_e32 v[16:17], 2, v[5:6]
	v_add_co_u32 v46, vcc_lo, s8, v46
	s_wait_alu 0xfffd
	v_add_co_ci_u32_e32 v47, vcc_lo, s9, v47, vcc_lo
	v_add_nc_u32_e32 v5, 30, v7
	s_delay_alu instid0(VALU_DEP_4)
	v_add_co_u32 v16, vcc_lo, s8, v16
	s_wait_alu 0xfffd
	v_add_co_ci_u32_e32 v17, vcc_lo, s9, v17, vcc_lo
	s_clause 0x1
	global_load_b64 v[46:47], v[46:47], off offset:160
	global_load_b64 v[57:58], v[16:17], off offset:160
	v_lshlrev_b64_e32 v[16:17], 2, v[5:6]
	v_add_nc_u32_e32 v5, 20, v7
	s_delay_alu instid0(VALU_DEP_2) | instskip(SKIP_1) | instid1(VALU_DEP_3)
	v_add_co_u32 v16, vcc_lo, s8, v16
	s_wait_alu 0xfffd
	v_add_co_ci_u32_e32 v17, vcc_lo, s9, v17, vcc_lo
	global_load_b64 v[59:60], v[16:17], off offset:160
	v_lshlrev_b64_e32 v[16:17], 2, v[5:6]
	v_dual_mov_b32 v8, v6 :: v_dual_lshlrev_b32 v5, 1, v8
	s_delay_alu instid0(VALU_DEP_2) | instskip(SKIP_1) | instid1(VALU_DEP_3)
	v_add_co_u32 v16, vcc_lo, s8, v16
	s_wait_alu 0xfffd
	v_add_co_ci_u32_e32 v17, vcc_lo, s9, v17, vcc_lo
	s_delay_alu instid0(VALU_DEP_3) | instskip(SKIP_3) | instid1(VALU_DEP_2)
	v_lshlrev_b64_e32 v[7:8], 2, v[7:8]
	global_load_b64 v[61:62], v[16:17], off offset:160
	v_lshlrev_b64_e32 v[16:17], 2, v[5:6]
	v_add_nc_u32_e32 v5, 5, v13
	v_add_co_u32 v16, vcc_lo, s8, v16
	s_wait_alu 0xfffd
	s_delay_alu instid0(VALU_DEP_3)
	v_add_co_ci_u32_e32 v17, vcc_lo, s9, v17, vcc_lo
	v_add_co_u32 v7, vcc_lo, s8, v7
	s_wait_alu 0xfffd
	v_add_co_ci_u32_e32 v8, vcc_lo, s9, v8, vcc_lo
	s_clause 0x1
	global_load_b64 v[63:64], v[16:17], off offset:160
	global_load_b64 v[65:66], v[7:8], off offset:160
	v_mul_hi_u32 v16, 0x51eb851f, v5
	ds_load_u16 v17, v14 offset:90
	ds_load_u16 v27, v15
	ds_load_u16 v41, v14 offset:200
	ds_load_u16 v44, v14 offset:190
	ds_load_u16 v75, v14 offset:180
	ds_load_u16 v76, v14 offset:170
	v_add_nc_u32_e32 v15, 10, v13
	v_mul_lo_u32 v7, s3, v3
	v_mul_lo_u32 v8, s2, v4
	v_mad_co_u64_u32 v[3:4], null, s2, v3, 0
	s_delay_alu instid0(VALU_DEP_4)
	v_mul_hi_u32 v68, 0x51eb851f, v15
	v_lshrrev_b32_e32 v16, 4, v16
	ds_load_u16 v77, v14 offset:20
	ds_load_u16 v78, v14 offset:30
	;; [unrolled: 1-line block ×11, first 2 shown]
	v_mul_lo_u32 v69, v16, 50
	v_add3_u32 v4, v4, v8, v7
	v_lshrrev_b32_e32 v68, 4, v68
	s_delay_alu instid0(VALU_DEP_2) | instskip(NEXT) | instid1(VALU_DEP_4)
	v_lshlrev_b64_e32 v[3:4], 2, v[3:4]
	v_sub_nc_u32_e32 v5, v5, v69
	s_delay_alu instid0(VALU_DEP_3) | instskip(NEXT) | instid1(VALU_DEP_2)
	v_mul_lo_u32 v69, v68, 50
	v_mad_co_u64_u32 v[7:8], null, 0x96, v16, v[5:6]
	s_delay_alu instid0(VALU_DEP_4)
	v_add_co_u32 v16, vcc_lo, s6, v3
	v_mov_b32_e32 v8, v6
	s_wait_alu 0xfffd
	v_add_co_ci_u32_e32 v4, vcc_lo, s7, v4, vcc_lo
	v_sub_nc_u32_e32 v3, v15, v69
	v_add_nc_u32_e32 v5, 50, v7
	v_add_co_u32 v1, vcc_lo, v16, v1
	v_lshlrev_b64_e32 v[15:16], 2, v[7:8]
	s_wait_alu 0xfffd
	v_add_co_ci_u32_e32 v2, vcc_lo, v4, v2, vcc_lo
	v_mad_co_u64_u32 v[67:68], null, 0x96, v68, v[3:4]
	v_lshlrev_b64_e32 v[3:4], 2, v[5:6]
	v_add_nc_u32_e32 v5, 0x64, v7
	v_add_co_u32 v69, vcc_lo, v1, v15
	s_wait_alu 0xfffd
	v_add_co_ci_u32_e32 v70, vcc_lo, v2, v16, vcc_lo
	s_delay_alu instid0(VALU_DEP_3) | instskip(SKIP_4) | instid1(VALU_DEP_4)
	v_lshlrev_b64_e32 v[7:8], 2, v[5:6]
	v_add_co_u32 v71, vcc_lo, v1, v3
	s_wait_alu 0xfffd
	v_add_co_ci_u32_e32 v72, vcc_lo, v2, v4, vcc_lo
	v_mul_hi_u32 v68, 0x51eb851f, v88
	v_add_co_u32 v73, vcc_lo, v1, v7
	s_wait_alu 0xfffd
	v_add_co_ci_u32_e32 v74, vcc_lo, v2, v8, vcc_lo
	s_delay_alu instid0(VALU_DEP_3)
	v_lshrrev_b32_e32 v93, 4, v68
	v_mov_b32_e32 v68, v6
	s_wait_loadcnt 0x9
	v_lshrrev_b32_e32 v3, 16, v11
	v_lshrrev_b32_e32 v4, 16, v12
	s_wait_dscnt 0xd
	s_delay_alu instid0(VALU_DEP_2) | instskip(SKIP_1) | instid1(VALU_DEP_2)
	v_mul_f16_e32 v5, v44, v3
	s_wait_dscnt 0x4
	v_mul_f16_e32 v7, v83, v4
	v_mul_f16_e32 v3, v55, v3
	s_wait_loadcnt 0x8
	v_lshrrev_b32_e32 v8, 16, v9
	v_mul_f16_e32 v4, v56, v4
	v_lshrrev_b32_e32 v15, 16, v10
	v_fma_f16 v16, v56, v12, -v7
	v_fmac_f16_e32 v3, v11, v44
	v_mul_f16_e32 v7, v75, v8
	v_fmac_f16_e32 v4, v12, v83
	v_fma_f16 v5, v55, v11, -v5
	s_wait_dscnt 0x3
	v_mul_f16_e32 v11, v84, v15
	v_mul_f16_e32 v12, v54, v8
	v_fma_f16 v44, v54, v9, -v7
	v_mul_f16_e32 v15, v53, v15
	v_add_f16_e32 v7, v3, v4
	v_fma_f16 v53, v53, v10, -v11
	v_fmac_f16_e32 v12, v9, v75
	s_wait_loadcnt 0x7
	v_lshrrev_b32_e32 v9, 16, v23
	v_fmac_f16_e32 v15, v10, v84
	v_add_f16_e32 v8, v3, v17
	v_add_f16_e32 v10, v5, v16
	v_sub_f16_e32 v11, v3, v4
	v_fma_f16 v3, -0.5, v7, v17
	v_add_f16_e32 v17, v52, v5
	v_lshrrev_b32_e32 v75, 16, v24
	ds_load_u16 v54, v14 offset:160
	ds_load_u16 v55, v14 offset:150
	;; [unrolled: 1-line block ×7, first 2 shown]
	v_add_f16_e32 v7, v4, v8
	v_sub_f16_e32 v5, v5, v16
	v_fma_f16 v4, -0.5, v10, v52
	v_add_f16_e32 v8, v17, v16
	s_wait_dscnt 0x9
	v_mul_f16_e32 v16, v85, v75
	v_mul_f16_e32 v17, v50, v9
	;; [unrolled: 1-line block ×4, first 2 shown]
	s_wait_loadcnt 0x6
	v_lshrrev_b32_e32 v75, 16, v25
	v_fma_f16 v51, v51, v24, -v16
	v_lshrrev_b32_e32 v16, 16, v26
	v_fmac_f16_e32 v17, v23, v76
	v_fmac_f16_e32 v52, v24, v85
	v_add_f16_e32 v24, v12, v15
	v_add_f16_e32 v76, v12, v27
	v_fma_f16 v50, v50, v23, -v10
	v_fmamk_f16 v10, v11, 0xbaee, v4
	v_fmac_f16_e32 v4, 0x3aee, v11
	v_sub_f16_e32 v84, v12, v15
	v_fma_f16 v11, -0.5, v24, v27
	s_wait_dscnt 0x6
	v_mul_f16_e32 v24, v54, v75
	v_add_f16_e32 v15, v15, v76
	v_mul_f16_e32 v27, v86, v16
	v_mul_f16_e32 v75, v45, v75
	;; [unrolled: 1-line block ×3, first 2 shown]
	v_sub_f16_e32 v23, v44, v53
	v_fmamk_f16 v9, v5, 0x3aee, v3
	v_fmac_f16_e32 v3, 0xbaee, v5
	v_add_f16_e32 v5, v44, v53
	v_add_f16_e32 v44, v49, v44
	v_fma_f16 v27, v48, v26, -v27
	v_fmac_f16_e32 v75, v25, v54
	v_fmac_f16_e32 v76, v26, v86
	v_add_f16_e32 v26, v17, v52
	v_add_f16_e32 v54, v17, v82
	v_fma_f16 v12, -0.5, v5, v49
	v_add_f16_e32 v16, v44, v53
	v_fma_f16 v5, v45, v25, -v24
	ds_load_u16 v44, v14 offset:240
	ds_load_u16 v45, v14 offset:230
	;; [unrolled: 1-line block ×5, first 2 shown]
	ds_load_u16 v85, v0
	s_wait_loadcnt 0x5
	v_lshrrev_b32_e32 v25, 16, v46
	v_fmamk_f16 v0, v23, 0x3aee, v11
	v_fmac_f16_e32 v11, 0xbaee, v23
	v_add_f16_e32 v23, v50, v51
	v_sub_f16_e32 v17, v17, v52
	v_fma_f16 v82, -0.5, v26, v82
	v_add_f16_e32 v26, v40, v50
	v_add_f16_e32 v52, v52, v54
	v_lshrrev_b32_e32 v54, 16, v47
	v_fmamk_f16 v14, v84, 0xbaee, v12
	v_fmac_f16_e32 v12, 0x3aee, v84
	v_fma_f16 v40, -0.5, v23, v40
	v_sub_f16_e32 v50, v50, v51
	v_add_f16_e32 v51, v26, v51
	v_mul_f16_e32 v26, v87, v54
	v_mul_f16_e32 v84, v42, v25
	s_wait_dscnt 0xb
	v_mul_f16_e32 v23, v55, v25
	v_mul_f16_e32 v54, v43, v54
	s_wait_loadcnt 0x4
	v_lshrrev_b32_e32 v25, 16, v57
	v_fma_f16 v43, v43, v47, -v26
	v_fmac_f16_e32 v84, v46, v55
	v_add_f16_e32 v26, v75, v76
	v_fmamk_f16 v55, v50, 0x3aee, v82
	v_fmac_f16_e32 v82, 0xbaee, v50
	v_fmamk_f16 v50, v17, 0xbaee, v40
	v_fmac_f16_e32 v40, 0x3aee, v17
	v_add_f16_e32 v17, v75, v81
	v_fma_f16 v42, v42, v46, -v23
	v_lshrrev_b32_e32 v46, 16, v58
	v_fmac_f16_e32 v54, v47, v87
	v_fma_f16 v81, -0.5, v26, v81
	v_add_f16_e32 v26, v5, v27
	v_sub_f16_e32 v75, v75, v76
	v_add_f16_e32 v76, v76, v17
	s_wait_dscnt 0xa
	v_mul_f16_e32 v17, v56, v25
	v_mul_f16_e32 v87, v39, v25
	v_sub_f16_e32 v47, v5, v27
	v_add_f16_e32 v5, v37, v5
	v_fma_f16 v37, -0.5, v26, v37
	s_wait_dscnt 0x5
	v_mul_f16_e32 v86, v44, v46
	v_fma_f16 v17, v39, v57, -v17
	v_lshlrev_b64_e32 v[25:26], 2, v[67:68]
	v_mul_f16_e32 v39, v38, v46
	s_wait_loadcnt 0x3
	v_lshrrev_b32_e32 v46, 16, v59
	v_fmac_f16_e32 v87, v57, v56
	v_add_f16_e32 v57, v84, v54
	v_add_f16_e32 v68, v84, v80
	v_fma_f16 v38, v38, v58, -v86
	v_lshrrev_b32_e32 v56, 16, v60
	v_fmac_f16_e32 v39, v58, v44
	v_sub_f16_e32 v44, v42, v43
	v_fmamk_f16 v58, v47, 0x3aee, v81
	v_fmac_f16_e32 v81, 0xbaee, v47
	v_fmamk_f16 v47, v75, 0xbaee, v37
	v_fmac_f16_e32 v37, 0x3aee, v75
	v_fma_f16 v57, -0.5, v57, v80
	v_add_f16_e32 v75, v42, v43
	v_sub_f16_e32 v80, v84, v54
	v_add_f16_e32 v42, v35, v42
	v_add_f16_e32 v54, v54, v68
	v_mul_f16_e32 v68, v83, v46
	v_mul_f16_e32 v46, v36, v46
	v_fma_f16 v35, -0.5, v75, v35
	s_wait_dscnt 0x4
	v_mul_f16_e32 v75, v45, v56
	v_mul_f16_e32 v56, v34, v56
	v_add_f16_e32 v42, v42, v43
	s_wait_loadcnt 0x2
	v_lshrrev_b32_e32 v43, 16, v61
	v_fma_f16 v36, v36, v59, -v68
	v_lshrrev_b32_e32 v68, 16, v62
	v_fmac_f16_e32 v46, v59, v83
	v_add_f16_e32 v59, v87, v39
	v_fma_f16 v34, v34, v60, -v75
	v_sub_f16_e32 v75, v17, v38
	v_fmac_f16_e32 v56, v60, v45
	v_add_f16_e32 v45, v87, v79
	v_add_f16_e32 v60, v17, v38
	;; [unrolled: 1-line block ×3, first 2 shown]
	v_fmamk_f16 v84, v44, 0x3aee, v57
	v_fmac_f16_e32 v57, 0xbaee, v44
	v_fmamk_f16 v44, v80, 0xbaee, v35
	v_fmac_f16_e32 v35, 0x3aee, v80
	v_mul_f16_e32 v80, v90, v43
	v_fma_f16 v59, -0.5, v59, v79
	s_wait_dscnt 0x3
	v_mul_f16_e32 v79, v48, v68
	v_mul_f16_e32 v43, v33, v43
	;; [unrolled: 1-line block ×3, first 2 shown]
	v_sub_f16_e32 v83, v87, v39
	v_add_f16_e32 v39, v39, v45
	s_wait_loadcnt 0x1
	v_lshrrev_b32_e32 v45, 16, v63
	v_fma_f16 v31, -0.5, v60, v31
	v_lshrrev_b32_e32 v60, 16, v64
	v_add_f16_e32 v38, v17, v38
	s_wait_loadcnt 0x0
	v_lshrrev_b32_e32 v17, 16, v65
	v_fma_f16 v33, v33, v61, -v80
	v_lshrrev_b32_e32 v80, 16, v66
	v_fma_f16 v32, v32, v62, -v79
	v_fmac_f16_e32 v43, v61, v90
	v_add_f16_e32 v61, v46, v56
	v_fmac_f16_e32 v68, v62, v48
	v_add_f16_e32 v48, v46, v78
	v_add_f16_e32 v62, v36, v34
	v_sub_f16_e32 v79, v36, v34
	v_sub_f16_e32 v46, v46, v56
	v_add_f16_e32 v36, v22, v36
	v_fmamk_f16 v86, v75, 0x3aee, v59
	v_fmac_f16_e32 v59, 0xbaee, v75
	v_fmamk_f16 v75, v83, 0xbaee, v31
	v_fmac_f16_e32 v31, 0x3aee, v83
	v_mul_f16_e32 v83, v91, v45
	v_fma_f16 v61, -0.5, v61, v78
	s_wait_dscnt 0x2
	v_mul_f16_e32 v78, v49, v60
	v_mul_f16_e32 v45, v28, v45
	;; [unrolled: 1-line block ×3, first 2 shown]
	v_add_f16_e32 v48, v56, v48
	v_mul_f16_e32 v56, v92, v17
	v_fma_f16 v62, -0.5, v62, v22
	v_mul_f16_e32 v22, v41, v80
	v_mul_f16_e32 v17, v29, v17
	;; [unrolled: 1-line block ×3, first 2 shown]
	v_add_f16_e32 v34, v36, v34
	v_sub_f16_e32 v36, v33, v32
	v_fma_f16 v28, v28, v63, -v83
	v_add_f16_e32 v83, v43, v68
	v_fma_f16 v21, v21, v64, -v78
	v_fmac_f16_e32 v45, v63, v91
	v_add_f16_e32 v63, v33, v32
	v_add_f16_e32 v33, v20, v33
	v_fmac_f16_e32 v60, v64, v49
	v_fma_f16 v29, v29, v65, -v56
	v_fma_f16 v22, v30, v66, -v22
	v_fmac_f16_e32 v17, v65, v92
	v_fmac_f16_e32 v80, v66, v41
	v_add_f16_e32 v78, v43, v77
	v_fmamk_f16 v41, v46, 0xbaee, v62
	v_fmac_f16_e32 v62, 0x3aee, v46
	v_fma_f16 v46, -0.5, v83, v77
	v_fma_f16 v56, -0.5, v63, v20
	v_add_f16_e32 v32, v33, v32
	v_sub_f16_e32 v20, v28, v21
	v_add_f16_e32 v33, v45, v60
	v_add_f16_e32 v64, v28, v21
	;; [unrolled: 1-line block ×5, first 2 shown]
	v_sub_f16_e32 v43, v43, v68
	v_add_f16_e32 v49, v68, v78
	v_sub_f16_e32 v65, v29, v22
	s_wait_dscnt 0x0
	v_add_f16_e32 v68, v17, v85
	v_add_f16_e32 v29, v18, v29
	;; [unrolled: 1-line block ×3, first 2 shown]
	v_sub_f16_e32 v17, v17, v80
	v_fma_f16 v33, -0.5, v33, v53
	v_add_f16_e32 v21, v28, v21
	v_fma_f16 v28, -0.5, v66, v85
	v_fma_f16 v18, -0.5, v77, v18
	v_lshlrev_b32_e32 v24, 2, v89
	v_sub_f16_e32 v45, v45, v60
	v_fma_f16 v19, -0.5, v64, v19
	v_add_f16_e32 v53, v80, v68
	v_add_f16_e32 v22, v29, v22
	v_fmamk_f16 v78, v36, 0x3aee, v46
	v_fmac_f16_e32 v46, 0xbaee, v36
	v_fmamk_f16 v36, v43, 0xbaee, v56
	v_fmac_f16_e32 v56, 0x3aee, v43
	v_add_f16_e32 v43, v60, v63
	v_fmamk_f16 v29, v20, 0x3aee, v33
	v_fmac_f16_e32 v33, 0xbaee, v20
	v_fmamk_f16 v20, v65, 0x3aee, v28
	v_fmac_f16_e32 v28, 0xbaee, v65
	;; [unrolled: 2-line block ×3, first 2 shown]
	v_add_co_u32 v23, vcc_lo, v1, v24
	v_fmamk_f16 v17, v45, 0xbaee, v19
	v_fmac_f16_e32 v19, 0x3aee, v45
	s_wait_alu 0xfffd
	v_add_co_ci_u32_e32 v24, vcc_lo, 0, v2, vcc_lo
	v_pack_b32_f16 v22, v22, v53
	v_pack_b32_f16 v18, v18, v28
	v_add_f16_e32 v27, v5, v27
	v_add_nc_u32_e32 v5, 50, v67
	v_pack_b32_f16 v20, v60, v20
	v_pack_b32_f16 v21, v21, v43
	;; [unrolled: 1-line block ×4, first 2 shown]
	s_clause 0x5
	global_store_b32 v[23:24], v22, off
	global_store_b32 v[23:24], v18, off offset:200
	global_store_b32 v[23:24], v20, off offset:400
	global_store_b32 v[69:70], v21, off
	global_store_b32 v[71:72], v19, off
	;; [unrolled: 1-line block ×3, first 2 shown]
	v_mul_lo_u32 v21, v93, 50
	v_lshlrev_b64_e32 v[17:18], 2, v[5:6]
	v_add_nc_u32_e32 v5, 0x64, v67
	v_pack_b32_f16 v28, v32, v49
	v_add_nc_u32_e32 v32, 20, v13
	v_add_co_u32 v19, vcc_lo, v1, v25
	s_delay_alu instid0(VALU_DEP_4) | instskip(SKIP_1) | instid1(VALU_DEP_4)
	v_lshlrev_b64_e32 v[22:23], 2, v[5:6]
	v_sub_nc_u32_e32 v21, v88, v21
	v_mul_hi_u32 v33, 0x51eb851f, v32
	s_wait_alu 0xfffd
	v_add_co_ci_u32_e32 v20, vcc_lo, v2, v26, vcc_lo
	v_add_co_u32 v17, vcc_lo, v1, v17
	v_mad_co_u64_u32 v[24:25], null, 0x96, v93, v[21:22]
	s_wait_alu 0xfffd
	v_add_co_ci_u32_e32 v18, vcc_lo, v2, v18, vcc_lo
	v_add_co_u32 v21, vcc_lo, v1, v22
	v_lshrrev_b32_e32 v33, 4, v33
	v_pack_b32_f16 v29, v56, v46
	s_wait_alu 0xfffd
	v_add_co_ci_u32_e32 v22, vcc_lo, v2, v23, vcc_lo
	v_pack_b32_f16 v23, v36, v78
	v_add_nc_u32_e32 v5, 50, v24
	s_clause 0x2
	global_store_b32 v[19:20], v28, off
	global_store_b32 v[17:18], v29, off
	;; [unrolled: 1-line block ×3, first 2 shown]
	v_mul_lo_u32 v21, v33, 50
	v_mov_b32_e32 v25, v6
	v_lshlrev_b64_e32 v[17:18], 2, v[5:6]
	v_add_nc_u32_e32 v5, 0x64, v24
	v_fmamk_f16 v30, v79, 0x3aee, v61
	v_fmac_f16_e32 v61, 0xbaee, v79
	v_lshlrev_b64_e32 v[25:26], 2, v[24:25]
	v_pack_b32_f16 v28, v34, v48
	v_lshlrev_b64_e32 v[22:23], 2, v[5:6]
	v_sub_nc_u32_e32 v21, v32, v21
	v_add_nc_u32_e32 v32, 25, v13
	v_pack_b32_f16 v29, v62, v61
	v_add_co_u32 v19, vcc_lo, v1, v25
	s_delay_alu instid0(VALU_DEP_4) | instskip(NEXT) | instid1(VALU_DEP_4)
	v_mad_co_u64_u32 v[24:25], null, 0x96, v33, v[21:22]
	v_mul_hi_u32 v33, 0x51eb851f, v32
	s_wait_alu 0xfffd
	v_add_co_ci_u32_e32 v20, vcc_lo, v2, v26, vcc_lo
	v_add_co_u32 v17, vcc_lo, v1, v17
	s_wait_alu 0xfffd
	v_add_co_ci_u32_e32 v18, vcc_lo, v2, v18, vcc_lo
	v_add_co_u32 v21, vcc_lo, v1, v22
	s_wait_alu 0xfffd
	v_add_co_ci_u32_e32 v22, vcc_lo, v2, v23, vcc_lo
	v_pack_b32_f16 v23, v41, v30
	v_lshrrev_b32_e32 v30, 4, v33
	v_add_nc_u32_e32 v5, 50, v24
	s_clause 0x2
	global_store_b32 v[19:20], v28, off
	global_store_b32 v[17:18], v29, off
	global_store_b32 v[21:22], v23, off
	v_mov_b32_e32 v25, v6
	v_pack_b32_f16 v29, v31, v59
	v_mul_lo_u32 v21, v30, 50
	v_lshlrev_b64_e32 v[17:18], 2, v[5:6]
	v_add_nc_u32_e32 v5, 0x64, v24
	v_lshlrev_b64_e32 v[25:26], 2, v[24:25]
	v_add_nc_u32_e32 v31, 30, v13
	v_pack_b32_f16 v28, v38, v39
	v_pack_b32_f16 v27, v27, v76
	v_lshlrev_b64_e32 v[22:23], 2, v[5:6]
	v_sub_nc_u32_e32 v21, v32, v21
	v_add_co_u32 v19, vcc_lo, v1, v25
	s_wait_alu 0xfffd
	v_add_co_ci_u32_e32 v20, vcc_lo, v2, v26, vcc_lo
	s_delay_alu instid0(VALU_DEP_3)
	v_mad_co_u64_u32 v[24:25], null, 0x96, v30, v[21:22]
	v_mul_hi_u32 v30, 0x51eb851f, v31
	v_add_co_u32 v17, vcc_lo, v1, v17
	s_wait_alu 0xfffd
	v_add_co_ci_u32_e32 v18, vcc_lo, v2, v18, vcc_lo
	v_add_co_u32 v21, vcc_lo, v1, v22
	s_wait_alu 0xfffd
	v_add_co_ci_u32_e32 v22, vcc_lo, v2, v23, vcc_lo
	v_lshrrev_b32_e32 v30, 4, v30
	v_pack_b32_f16 v23, v75, v86
	v_add_nc_u32_e32 v5, 50, v24
	s_clause 0x2
	global_store_b32 v[19:20], v28, off
	global_store_b32 v[17:18], v29, off
	;; [unrolled: 1-line block ×3, first 2 shown]
	v_mul_lo_u32 v21, v30, 50
	v_mov_b32_e32 v25, v6
	v_lshlrev_b64_e32 v[17:18], 2, v[5:6]
	v_add_nc_u32_e32 v5, 0x64, v24
	v_pack_b32_f16 v28, v42, v54
	v_pack_b32_f16 v29, v35, v57
	v_lshlrev_b64_e32 v[25:26], 2, v[24:25]
	v_pack_b32_f16 v3, v4, v3
	v_lshlrev_b64_e32 v[22:23], 2, v[5:6]
	v_sub_nc_u32_e32 v21, v31, v21
	v_add_nc_u32_e32 v31, 35, v13
	v_add_co_u32 v19, vcc_lo, v1, v25
	s_delay_alu instid0(VALU_DEP_3) | instskip(SKIP_1) | instid1(VALU_DEP_4)
	v_mad_co_u64_u32 v[24:25], null, 0x96, v30, v[21:22]
	v_mov_b32_e32 v25, v6
	v_mul_hi_u32 v30, 0x51eb851f, v31
	s_wait_alu 0xfffd
	v_add_co_ci_u32_e32 v20, vcc_lo, v2, v26, vcc_lo
	v_add_co_u32 v17, vcc_lo, v1, v17
	s_wait_alu 0xfffd
	v_add_co_ci_u32_e32 v18, vcc_lo, v2, v18, vcc_lo
	v_add_co_u32 v21, vcc_lo, v1, v22
	v_lshrrev_b32_e32 v30, 4, v30
	s_wait_alu 0xfffd
	v_add_co_ci_u32_e32 v22, vcc_lo, v2, v23, vcc_lo
	v_pack_b32_f16 v23, v44, v84
	v_add_nc_u32_e32 v5, 50, v24
	s_clause 0x2
	global_store_b32 v[19:20], v28, off
	global_store_b32 v[17:18], v29, off
	;; [unrolled: 1-line block ×3, first 2 shown]
	v_mul_lo_u32 v21, v30, 50
	v_lshlrev_b64_e32 v[25:26], 2, v[24:25]
	v_lshlrev_b64_e32 v[17:18], 2, v[5:6]
	v_add_nc_u32_e32 v5, 0x64, v24
	v_add_nc_u32_e32 v28, 40, v13
	v_pack_b32_f16 v29, v37, v81
	v_add_co_u32 v19, vcc_lo, v1, v25
	s_delay_alu instid0(VALU_DEP_4) | instskip(SKIP_4) | instid1(VALU_DEP_3)
	v_lshlrev_b64_e32 v[22:23], 2, v[5:6]
	v_sub_nc_u32_e32 v21, v31, v21
	s_wait_alu 0xfffd
	v_add_co_ci_u32_e32 v20, vcc_lo, v2, v26, vcc_lo
	v_add_co_u32 v17, vcc_lo, v1, v17
	v_mad_co_u64_u32 v[24:25], null, 0x96, v30, v[21:22]
	v_mov_b32_e32 v25, v6
	s_wait_alu 0xfffd
	v_add_co_ci_u32_e32 v18, vcc_lo, v2, v18, vcc_lo
	v_mul_hi_u32 v5, 0x51eb851f, v28
	v_add_co_u32 v21, vcc_lo, v1, v22
	v_lshlrev_b64_e32 v[25:26], 2, v[24:25]
	s_wait_alu 0xfffd
	v_add_co_ci_u32_e32 v22, vcc_lo, v2, v23, vcc_lo
	v_pack_b32_f16 v23, v47, v58
	s_clause 0x2
	global_store_b32 v[19:20], v27, off
	global_store_b32 v[17:18], v29, off
	;; [unrolled: 1-line block ×3, first 2 shown]
	v_add_co_u32 v17, vcc_lo, v1, v25
	v_lshrrev_b32_e32 v30, 4, v5
	s_wait_alu 0xfffd
	v_add_co_ci_u32_e32 v18, vcc_lo, v2, v26, vcc_lo
	v_add_nc_u32_e32 v26, 45, v13
	v_add_nc_u32_e32 v5, 50, v24
	v_mul_lo_u32 v21, v30, 50
	v_pack_b32_f16 v27, v51, v52
	s_delay_alu instid0(VALU_DEP_4) | instskip(NEXT) | instid1(VALU_DEP_4)
	v_mul_hi_u32 v25, 0x51eb851f, v26
	v_lshlrev_b64_e32 v[19:20], 2, v[5:6]
	v_add_nc_u32_e32 v5, 0x64, v24
	v_sub_nc_u32_e32 v13, v28, v21
	v_pack_b32_f16 v28, v40, v82
	s_delay_alu instid0(VALU_DEP_3) | instskip(SKIP_3) | instid1(VALU_DEP_3)
	v_lshlrev_b64_e32 v[21:22], 2, v[5:6]
	v_lshrrev_b32_e32 v29, 4, v25
	v_add_co_u32 v19, vcc_lo, v1, v19
	v_mad_co_u64_u32 v[23:24], null, 0x96, v30, v[13:14]
	v_mul_lo_u32 v30, v29, 50
	s_wait_alu 0xfffd
	v_add_co_ci_u32_e32 v20, vcc_lo, v2, v20, vcc_lo
	v_add_co_u32 v21, vcc_lo, v1, v21
	s_wait_alu 0xfffd
	v_add_co_ci_u32_e32 v22, vcc_lo, v2, v22, vcc_lo
	v_pack_b32_f16 v13, v50, v55
	v_dual_mov_b32 v24, v6 :: v_dual_add_nc_u32 v5, 50, v23
	s_clause 0x2
	global_store_b32 v[17:18], v27, off
	global_store_b32 v[19:20], v28, off
	;; [unrolled: 1-line block ×3, first 2 shown]
	v_sub_nc_u32_e32 v13, v26, v30
	v_lshlrev_b64_e32 v[24:25], 2, v[23:24]
	v_lshlrev_b64_e32 v[17:18], 2, v[5:6]
	v_add_nc_u32_e32 v5, 0x64, v23
	v_pack_b32_f16 v23, v16, v15
	v_mad_co_u64_u32 v[15:16], null, 0x96, v29, v[13:14]
	v_mov_b32_e32 v16, v6
	s_delay_alu instid0(VALU_DEP_4)
	v_lshlrev_b64_e32 v[21:22], 2, v[5:6]
	v_add_co_u32 v19, vcc_lo, v1, v24
	s_wait_alu 0xfffd
	v_add_co_ci_u32_e32 v20, vcc_lo, v2, v25, vcc_lo
	v_add_nc_u32_e32 v5, 50, v15
	v_add_co_u32 v17, vcc_lo, v1, v17
	v_pack_b32_f16 v24, v12, v11
	v_lshlrev_b64_e32 v[11:12], 2, v[15:16]
	v_pack_b32_f16 v16, v14, v0
	v_lshlrev_b64_e32 v[13:14], 2, v[5:6]
	v_add_nc_u32_e32 v5, 0x64, v15
	s_wait_alu 0xfffd
	v_add_co_ci_u32_e32 v18, vcc_lo, v2, v18, vcc_lo
	v_add_co_u32 v21, vcc_lo, v1, v21
	s_wait_alu 0xfffd
	v_add_co_ci_u32_e32 v22, vcc_lo, v2, v22, vcc_lo
	v_add_co_u32 v11, vcc_lo, v1, v11
	v_lshlrev_b64_e32 v[5:6], 2, v[5:6]
	s_wait_alu 0xfffd
	v_add_co_ci_u32_e32 v12, vcc_lo, v2, v12, vcc_lo
	v_pack_b32_f16 v15, v8, v7
	v_add_co_u32 v7, vcc_lo, v1, v13
	s_wait_alu 0xfffd
	v_add_co_ci_u32_e32 v8, vcc_lo, v2, v14, vcc_lo
	v_add_co_u32 v0, vcc_lo, v1, v5
	s_wait_alu 0xfffd
	v_add_co_ci_u32_e32 v1, vcc_lo, v2, v6, vcc_lo
	v_pack_b32_f16 v2, v10, v9
	s_clause 0x5
	global_store_b32 v[19:20], v23, off
	global_store_b32 v[17:18], v24, off
	;; [unrolled: 1-line block ×6, first 2 shown]
.LBB0_14:
	s_nop 0
	s_sendmsg sendmsg(MSG_DEALLOC_VGPRS)
	s_endpgm
	.section	.rodata,"a",@progbits
	.p2align	6, 0x0
	.amdhsa_kernel fft_rtc_fwd_len150_factors_10_5_3_wgs_60_tpt_5_halfLds_half_op_CI_CI_unitstride_sbrr_dirReg
		.amdhsa_group_segment_fixed_size 0
		.amdhsa_private_segment_fixed_size 0
		.amdhsa_kernarg_size 104
		.amdhsa_user_sgpr_count 2
		.amdhsa_user_sgpr_dispatch_ptr 0
		.amdhsa_user_sgpr_queue_ptr 0
		.amdhsa_user_sgpr_kernarg_segment_ptr 1
		.amdhsa_user_sgpr_dispatch_id 0
		.amdhsa_user_sgpr_private_segment_size 0
		.amdhsa_wavefront_size32 1
		.amdhsa_uses_dynamic_stack 0
		.amdhsa_enable_private_segment 0
		.amdhsa_system_sgpr_workgroup_id_x 1
		.amdhsa_system_sgpr_workgroup_id_y 0
		.amdhsa_system_sgpr_workgroup_id_z 0
		.amdhsa_system_sgpr_workgroup_info 0
		.amdhsa_system_vgpr_workitem_id 0
		.amdhsa_next_free_vgpr 104
		.amdhsa_next_free_sgpr 39
		.amdhsa_reserve_vcc 1
		.amdhsa_float_round_mode_32 0
		.amdhsa_float_round_mode_16_64 0
		.amdhsa_float_denorm_mode_32 3
		.amdhsa_float_denorm_mode_16_64 3
		.amdhsa_fp16_overflow 0
		.amdhsa_workgroup_processor_mode 1
		.amdhsa_memory_ordered 1
		.amdhsa_forward_progress 0
		.amdhsa_round_robin_scheduling 0
		.amdhsa_exception_fp_ieee_invalid_op 0
		.amdhsa_exception_fp_denorm_src 0
		.amdhsa_exception_fp_ieee_div_zero 0
		.amdhsa_exception_fp_ieee_overflow 0
		.amdhsa_exception_fp_ieee_underflow 0
		.amdhsa_exception_fp_ieee_inexact 0
		.amdhsa_exception_int_div_zero 0
	.end_amdhsa_kernel
	.text
.Lfunc_end0:
	.size	fft_rtc_fwd_len150_factors_10_5_3_wgs_60_tpt_5_halfLds_half_op_CI_CI_unitstride_sbrr_dirReg, .Lfunc_end0-fft_rtc_fwd_len150_factors_10_5_3_wgs_60_tpt_5_halfLds_half_op_CI_CI_unitstride_sbrr_dirReg
                                        ; -- End function
	.section	.AMDGPU.csdata,"",@progbits
; Kernel info:
; codeLenInByte = 13456
; NumSgprs: 41
; NumVgprs: 104
; ScratchSize: 0
; MemoryBound: 0
; FloatMode: 240
; IeeeMode: 1
; LDSByteSize: 0 bytes/workgroup (compile time only)
; SGPRBlocks: 5
; VGPRBlocks: 12
; NumSGPRsForWavesPerEU: 41
; NumVGPRsForWavesPerEU: 104
; Occupancy: 12
; WaveLimiterHint : 1
; COMPUTE_PGM_RSRC2:SCRATCH_EN: 0
; COMPUTE_PGM_RSRC2:USER_SGPR: 2
; COMPUTE_PGM_RSRC2:TRAP_HANDLER: 0
; COMPUTE_PGM_RSRC2:TGID_X_EN: 1
; COMPUTE_PGM_RSRC2:TGID_Y_EN: 0
; COMPUTE_PGM_RSRC2:TGID_Z_EN: 0
; COMPUTE_PGM_RSRC2:TIDIG_COMP_CNT: 0
	.text
	.p2alignl 7, 3214868480
	.fill 96, 4, 3214868480
	.type	__hip_cuid_2d3f4d40e9413b03,@object ; @__hip_cuid_2d3f4d40e9413b03
	.section	.bss,"aw",@nobits
	.globl	__hip_cuid_2d3f4d40e9413b03
__hip_cuid_2d3f4d40e9413b03:
	.byte	0                               ; 0x0
	.size	__hip_cuid_2d3f4d40e9413b03, 1

	.ident	"AMD clang version 19.0.0git (https://github.com/RadeonOpenCompute/llvm-project roc-6.4.0 25133 c7fe45cf4b819c5991fe208aaa96edf142730f1d)"
	.section	".note.GNU-stack","",@progbits
	.addrsig
	.addrsig_sym __hip_cuid_2d3f4d40e9413b03
	.amdgpu_metadata
---
amdhsa.kernels:
  - .args:
      - .actual_access:  read_only
        .address_space:  global
        .offset:         0
        .size:           8
        .value_kind:     global_buffer
      - .offset:         8
        .size:           8
        .value_kind:     by_value
      - .actual_access:  read_only
        .address_space:  global
        .offset:         16
        .size:           8
        .value_kind:     global_buffer
      - .actual_access:  read_only
        .address_space:  global
        .offset:         24
        .size:           8
        .value_kind:     global_buffer
      - .actual_access:  read_only
        .address_space:  global
        .offset:         32
        .size:           8
        .value_kind:     global_buffer
      - .offset:         40
        .size:           8
        .value_kind:     by_value
      - .actual_access:  read_only
        .address_space:  global
        .offset:         48
        .size:           8
        .value_kind:     global_buffer
      - .actual_access:  read_only
        .address_space:  global
        .offset:         56
        .size:           8
        .value_kind:     global_buffer
      - .offset:         64
        .size:           4
        .value_kind:     by_value
      - .actual_access:  read_only
        .address_space:  global
        .offset:         72
        .size:           8
        .value_kind:     global_buffer
      - .actual_access:  read_only
        .address_space:  global
        .offset:         80
        .size:           8
        .value_kind:     global_buffer
      - .actual_access:  read_only
        .address_space:  global
        .offset:         88
        .size:           8
        .value_kind:     global_buffer
      - .actual_access:  write_only
        .address_space:  global
        .offset:         96
        .size:           8
        .value_kind:     global_buffer
    .group_segment_fixed_size: 0
    .kernarg_segment_align: 8
    .kernarg_segment_size: 104
    .language:       OpenCL C
    .language_version:
      - 2
      - 0
    .max_flat_workgroup_size: 60
    .name:           fft_rtc_fwd_len150_factors_10_5_3_wgs_60_tpt_5_halfLds_half_op_CI_CI_unitstride_sbrr_dirReg
    .private_segment_fixed_size: 0
    .sgpr_count:     41
    .sgpr_spill_count: 0
    .symbol:         fft_rtc_fwd_len150_factors_10_5_3_wgs_60_tpt_5_halfLds_half_op_CI_CI_unitstride_sbrr_dirReg.kd
    .uniform_work_group_size: 1
    .uses_dynamic_stack: false
    .vgpr_count:     104
    .vgpr_spill_count: 0
    .wavefront_size: 32
    .workgroup_processor_mode: 1
amdhsa.target:   amdgcn-amd-amdhsa--gfx1201
amdhsa.version:
  - 1
  - 2
...

	.end_amdgpu_metadata
